;; amdgpu-corpus repo=ROCm/rocSPARSE kind=compiled arch=gfx1100 opt=O3
	.text
	.amdgcn_target "amdgcn-amd-amdhsa--gfx1100"
	.amdhsa_code_object_version 6
	.section	.text._ZN9rocsparseL15bsrilu0_generalILj128ELj64ELb1EfEEv20rocsparse_direction_iPKiS3_PT2_S3_iPiS3_S6_21rocsparse_index_base_imNS_24const_host_device_scalarIfEENS8_IdEENS8_IS4_EEb,"axG",@progbits,_ZN9rocsparseL15bsrilu0_generalILj128ELj64ELb1EfEEv20rocsparse_direction_iPKiS3_PT2_S3_iPiS3_S6_21rocsparse_index_base_imNS_24const_host_device_scalarIfEENS8_IdEENS8_IS4_EEb,comdat
	.globl	_ZN9rocsparseL15bsrilu0_generalILj128ELj64ELb1EfEEv20rocsparse_direction_iPKiS3_PT2_S3_iPiS3_S6_21rocsparse_index_base_imNS_24const_host_device_scalarIfEENS8_IdEENS8_IS4_EEb ; -- Begin function _ZN9rocsparseL15bsrilu0_generalILj128ELj64ELb1EfEEv20rocsparse_direction_iPKiS3_PT2_S3_iPiS3_S6_21rocsparse_index_base_imNS_24const_host_device_scalarIfEENS8_IdEENS8_IS4_EEb
	.p2align	8
	.type	_ZN9rocsparseL15bsrilu0_generalILj128ELj64ELb1EfEEv20rocsparse_direction_iPKiS3_PT2_S3_iPiS3_S6_21rocsparse_index_base_imNS_24const_host_device_scalarIfEENS8_IdEENS8_IS4_EEb,@function
_ZN9rocsparseL15bsrilu0_generalILj128ELj64ELb1EfEEv20rocsparse_direction_iPKiS3_PT2_S3_iPiS3_S6_21rocsparse_index_base_imNS_24const_host_device_scalarIfEENS8_IdEENS8_IS4_EEb: ; @_ZN9rocsparseL15bsrilu0_generalILj128ELj64ELb1EfEEv20rocsparse_direction_iPKiS3_PT2_S3_iPiS3_S6_21rocsparse_index_base_imNS_24const_host_device_scalarIfEENS8_IdEENS8_IS4_EEb
; %bb.0:
	s_clause 0x2
	s_load_b32 s2, s[0:1], 0x70
	s_load_b64 s[24:25], s[0:1], 0x48
	s_load_b256 s[16:23], s[0:1], 0x50
	s_waitcnt lgkmcnt(0)
	s_bitcmp1_b32 s2, 0
	s_cselect_b32 s5, -1, 0
	s_cmp_lg_u32 s25, 0
	s_cselect_b32 s26, -1, 0
	s_cmp_eq_u32 s25, 0
	s_cselect_b32 s4, -1, 0
	s_delay_alu instid0(SALU_CYCLE_1) | instskip(SKIP_3) | instid1(SALU_CYCLE_1)
	s_and_b32 s2, s4, exec_lo
	s_cselect_b32 s2, 0, s20
	s_cselect_b32 s3, 0, s21
	s_or_b32 s5, s4, s5
	s_and_b32 vcc_lo, exec_lo, s5
	s_xor_b32 s5, s5, -1
	s_cbranch_vccnz .LBB0_2
; %bb.1:
	s_load_b32 s2, s[18:19], 0x0
	s_waitcnt lgkmcnt(0)
	v_mov_b32_e32 v18, s2
	s_mov_b64 s[2:3], s[20:21]
	s_branch .LBB0_3
.LBB0_2:
	v_cndmask_b32_e64 v18, s18, 0, s4
.LBB0_3:
	v_cndmask_b32_e64 v1, 0, 1, s5
	v_dual_mov_b32 v7, s3 :: v_dual_mov_b32 v6, s2
	s_and_not1_b32 vcc_lo, exec_lo, s5
	s_cbranch_vccnz .LBB0_5
; %bb.4:
	v_dual_mov_b32 v2, s20 :: v_dual_mov_b32 v3, s21
	flat_load_b64 v[6:7], v[2:3]
.LBB0_5:
	s_delay_alu instid0(VALU_DEP_2)
	v_cmp_ne_u32_e32 vcc_lo, 1, v1
	s_cbranch_vccnz .LBB0_7
; %bb.6:
	s_load_b32 s2, s[22:23], 0x0
	s_waitcnt lgkmcnt(0)
	v_mov_b32_e32 v17, s2
	s_branch .LBB0_8
.LBB0_7:
	v_cndmask_b32_e64 v17, s22, 0, s4
.LBB0_8:
	s_load_b64 s[20:21], s[0:1], 0x0
	v_lshrrev_b32_e32 v1, 6, v0
	s_lshl_b32 s2, s15, 1
	s_delay_alu instid0(VALU_DEP_1) | instid1(SALU_CYCLE_1)
	v_and_or_b32 v1, 0x3fffffe, s2, v1
	s_mov_b32 s2, exec_lo
	s_waitcnt lgkmcnt(0)
	s_delay_alu instid0(VALU_DEP_1)
	v_cmpx_gt_i32_e64 s21, v1
	s_cbranch_execz .LBB0_155
; %bb.9:
	s_clause 0x1
	s_load_b128 s[12:15], s[0:1], 0x30
	s_load_b64 s[18:19], s[0:1], 0x40
	v_lshlrev_b32_e32 v1, 2, v1
	s_load_b256 s[4:11], s[0:1], 0x8
	v_and_b32_e32 v0, 63, v0
	s_mov_b32 s2, -1
	s_waitcnt lgkmcnt(0)
	global_load_b32 v1, v1, s[14:15]
	s_mov_b32 s15, exec_lo
	s_waitcnt vmcnt(0)
	v_ashrrev_i32_e32 v2, 31, v1
	s_delay_alu instid0(VALU_DEP_1) | instskip(NEXT) | instid1(VALU_DEP_1)
	v_lshlrev_b64 v[2:3], 2, v[1:2]
	v_add_co_u32 v4, vcc_lo, s10, v2
	s_delay_alu instid0(VALU_DEP_2)
	v_add_co_ci_u32_e32 v5, vcc_lo, s11, v3, vcc_lo
	global_load_b32 v4, v[4:5], off
	s_waitcnt vmcnt(0)
	v_cmpx_ne_u32_e32 -1, v4
	s_cbranch_execz .LBB0_149
; %bb.10:
	v_add_co_u32 v8, vcc_lo, s4, v2
	v_add_co_ci_u32_e32 v9, vcc_lo, s5, v3, vcc_lo
	s_load_b32 s14, s[0:1], 0x28
	s_mov_b32 s3, 0
	s_mov_b32 s22, exec_lo
	global_load_b64 v[8:9], v[8:9], off
	s_waitcnt vmcnt(0)
	v_subrev_nc_u32_e32 v8, s24, v8
	v_subrev_nc_u32_e32 v16, s24, v9
	s_delay_alu instid0(VALU_DEP_2)
	v_cmpx_lt_i32_e64 v8, v4
	s_cbranch_execz .LBB0_84
; %bb.11:
	v_add_nc_u32_e32 v10, v8, v0
	s_waitcnt lgkmcnt(0)
	v_mad_u64_u32 v[13:14], null, s14, v8, v[0:1]
	s_cmp_gt_i32 s14, 0
	v_cmp_gt_i32_e64 s0, s14, v0
	v_ashrrev_i32_e32 v11, 31, v10
	s_cselect_b32 s23, -1, 0
	s_cmp_lg_u32 s20, 0
	v_cmp_le_i32_e64 s1, s14, v0
	s_delay_alu instid0(VALU_DEP_4)
	v_mul_lo_u32 v19, s14, v13
	v_lshlrev_b64 v[11:12], 2, v[10:11]
	s_cselect_b32 s27, -1, 0
	s_add_i32 s21, s21, 1
	v_cmp_lt_i32_e64 s2, v10, v16
	s_add_u32 s28, s4, 4
	s_addc_u32 s29, s5, 0
	v_add_co_u32 v11, vcc_lo, s6, v11
	v_add_co_ci_u32_e32 v12, vcc_lo, s7, v12, vcc_lo
	s_add_u32 s30, s6, 0x100
	s_mov_b32 s25, 0
	s_addc_u32 s31, s7, 0
	s_mul_i32 s33, s14, s14
	s_lshl_b32 s34, s14, 6
	s_mov_b32 s35, 0
                                        ; implicit-def: $sgpr36
                                        ; implicit-def: $sgpr37
	s_branch .LBB0_14
.LBB0_12:                               ;   in Loop: Header=BB0_14 Depth=1
	s_or_b32 exec_lo, exec_lo, s4
	s_delay_alu instid0(SALU_CYCLE_1) | instskip(SKIP_1) | instid1(SALU_CYCLE_1)
	s_and_not1_b32 s4, s37, exec_lo
	s_and_b32 s5, s25, exec_lo
	s_or_b32 s37, s4, s5
.LBB0_13:                               ;   in Loop: Header=BB0_14 Depth=1
	s_or_b32 exec_lo, exec_lo, s38
	v_add_nc_u32_e32 v8, 1, v8
	s_xor_b32 s3, s3, -1
	v_add_nc_u32_e32 v19, s33, v19
	s_mov_b32 s25, s37
	s_delay_alu instid0(VALU_DEP_2) | instskip(SKIP_1) | instid1(SALU_CYCLE_1)
	v_cmp_ge_i32_e32 vcc_lo, v8, v4
	s_or_b32 s3, s3, vcc_lo
	s_and_b32 s3, exec_lo, s3
	s_delay_alu instid0(SALU_CYCLE_1) | instskip(SKIP_2) | instid1(SALU_CYCLE_1)
	s_or_b32 s35, s3, s35
	s_and_not1_b32 s3, s36, exec_lo
	s_and_b32 s4, s37, exec_lo
	s_or_b32 s36, s3, s4
	s_and_not1_b32 exec_lo, exec_lo, s35
	s_cbranch_execz .LBB0_83
.LBB0_14:                               ; =>This Loop Header: Depth=1
                                        ;     Child Loop BB0_18 Depth 2
                                        ;       Child Loop BB0_19 Depth 3
                                        ;     Child Loop BB0_24 Depth 2
                                        ;       Child Loop BB0_29 Depth 3
                                        ;         Child Loop BB0_39 Depth 4
                                        ;     Child Loop BB0_57 Depth 2
                                        ;       Child Loop BB0_62 Depth 3
                                        ;       Child Loop BB0_69 Depth 3
                                        ;         Child Loop BB0_72 Depth 4
                                        ;           Child Loop BB0_74 Depth 5
	v_ashrrev_i32_e32 v9, 31, v8
	s_or_b32 s37, s37, exec_lo
	s_delay_alu instid0(VALU_DEP_1) | instskip(NEXT) | instid1(VALU_DEP_1)
	v_lshlrev_b64 v[13:14], 2, v[8:9]
	v_add_co_u32 v13, vcc_lo, s6, v13
	s_delay_alu instid0(VALU_DEP_2) | instskip(SKIP_4) | instid1(VALU_DEP_1)
	v_add_co_ci_u32_e32 v14, vcc_lo, s7, v14, vcc_lo
	s_waitcnt lgkmcnt(0)
	global_load_b32 v5, v[13:14], off
	s_waitcnt vmcnt(0)
	v_subrev_nc_u32_e32 v13, s24, v5
	v_ashrrev_i32_e32 v14, 31, v13
	s_delay_alu instid0(VALU_DEP_1) | instskip(NEXT) | instid1(VALU_DEP_1)
	v_lshlrev_b64 v[13:14], 2, v[13:14]
	v_add_co_u32 v20, vcc_lo, s10, v13
	s_delay_alu instid0(VALU_DEP_2) | instskip(SKIP_3) | instid1(VALU_DEP_1)
	v_add_co_ci_u32_e32 v21, vcc_lo, s11, v14, vcc_lo
	global_load_b32 v21, v[20:21], off
	s_waitcnt vmcnt(0)
	v_cmp_ne_u32_e64 s3, -1, v21
	s_and_saveexec_b32 s38, s3
	s_cbranch_execz .LBB0_13
; %bb.15:                               ;   in Loop: Header=BB0_14 Depth=1
	v_add_co_u32 v22, vcc_lo, s28, v13
	v_add_co_ci_u32_e32 v23, vcc_lo, s29, v14, vcc_lo
	v_add_co_u32 v13, vcc_lo, s12, v13
	v_add_co_ci_u32_e32 v14, vcc_lo, s13, v14, vcc_lo
	s_mov_b32 s4, exec_lo
	global_load_b32 v22, v[22:23], off
	global_load_b32 v5, v[13:14], off glc
	s_waitcnt vmcnt(0)
	v_cmpx_eq_u32_e32 0, v5
	s_cbranch_execz .LBB0_20
; %bb.16:                               ;   in Loop: Header=BB0_14 Depth=1
	s_mov_b32 s5, 0
	s_mov_b32 s39, 0
	s_branch .LBB0_18
	.p2align	6
.LBB0_17:                               ;   in Loop: Header=BB0_18 Depth=2
	global_load_b32 v5, v[13:14], off glc
	s_cmpk_lt_u32 s39, 0xf43
	s_cselect_b32 s40, -1, 0
	s_delay_alu instid0(SALU_CYCLE_1) | instskip(SKIP_4) | instid1(SALU_CYCLE_1)
	s_cmp_lg_u32 s40, 0
	s_addc_u32 s39, s39, 0
	s_waitcnt vmcnt(0)
	v_cmp_ne_u32_e32 vcc_lo, 0, v5
	s_or_b32 s5, vcc_lo, s5
	s_and_not1_b32 exec_lo, exec_lo, s5
	s_cbranch_execz .LBB0_20
.LBB0_18:                               ;   Parent Loop BB0_14 Depth=1
                                        ; =>  This Loop Header: Depth=2
                                        ;       Child Loop BB0_19 Depth 3
	s_cmp_eq_u32 s39, 0
	s_mov_b32 s40, s39
	s_cbranch_scc1 .LBB0_17
.LBB0_19:                               ;   Parent Loop BB0_14 Depth=1
                                        ;     Parent Loop BB0_18 Depth=2
                                        ; =>    This Inner Loop Header: Depth=3
	s_add_i32 s40, s40, -1
	s_sleep 1
	s_cmp_eq_u32 s40, 0
	s_cbranch_scc0 .LBB0_19
	s_branch .LBB0_17
.LBB0_20:                               ;   in Loop: Header=BB0_14 Depth=1
	s_or_b32 exec_lo, exec_lo, s4
	v_mul_lo_u32 v20, v8, s14
	s_and_not1_b32 vcc_lo, exec_lo, s23
	buffer_gl1_inv
	buffer_gl0_inv
	s_cbranch_vccnz .LBB0_53
; %bb.21:                               ;   in Loop: Header=BB0_14 Depth=1
	v_mul_lo_u32 v23, v21, s14
	v_mov_b32_e32 v5, 0
	s_mov_b32 s39, 0
	s_branch .LBB0_24
.LBB0_22:                               ;   in Loop: Header=BB0_24 Depth=2
	s_or_b32 exec_lo, exec_lo, s41
	v_mov_b32_e32 v5, v24
.LBB0_23:                               ;   in Loop: Header=BB0_24 Depth=2
	s_or_b32 exec_lo, exec_lo, s40
	s_delay_alu instid0(VALU_DEP_1) | instskip(SKIP_1) | instid1(SALU_CYCLE_1)
	v_cmp_eq_u32_e32 vcc_lo, s14, v5
	s_or_b32 s39, vcc_lo, s39
	s_and_not1_b32 exec_lo, exec_lo, s39
	s_cbranch_execz .LBB0_52
.LBB0_24:                               ;   Parent Loop BB0_14 Depth=1
                                        ; =>  This Loop Header: Depth=2
                                        ;       Child Loop BB0_29 Depth 3
                                        ;         Child Loop BB0_39 Depth 4
	s_delay_alu instid0(VALU_DEP_1) | instskip(SKIP_1) | instid1(SALU_CYCLE_1)
	v_add_nc_u32_e32 v24, 1, v5
	s_and_saveexec_b32 s4, s1
	s_xor_b32 s4, exec_lo, s4
; %bb.25:                               ;   in Loop: Header=BB0_24 Depth=2
	v_add_nc_u32_e32 v5, 1, v5
                                        ; implicit-def: $vgpr24
; %bb.26:                               ;   in Loop: Header=BB0_24 Depth=2
	s_and_not1_saveexec_b32 s40, s4
	s_cbranch_execz .LBB0_23
; %bb.27:                               ;   in Loop: Header=BB0_24 Depth=2
	s_delay_alu instid0(VALU_DEP_1) | instskip(SKIP_2) | instid1(VALU_DEP_2)
	v_dual_mov_b32 v28, v19 :: v_dual_add_nc_u32 v9, v5, v23
	v_cmp_gt_i32_e64 s4, s14, v24
	s_mov_b32 s41, 0
	v_mul_lo_u32 v25, v9, s14
	v_add_nc_u32_e32 v9, v5, v20
	s_delay_alu instid0(VALU_DEP_1) | instskip(SKIP_1) | instid1(VALU_DEP_4)
	v_mul_lo_u32 v27, v9, s14
	v_mov_b32_e32 v9, v0
	v_add_nc_u32_e32 v13, v25, v5
	s_delay_alu instid0(VALU_DEP_1) | instskip(NEXT) | instid1(VALU_DEP_1)
	v_ashrrev_i32_e32 v14, 31, v13
	v_lshlrev_b64 v[13:14], 2, v[13:14]
	s_delay_alu instid0(VALU_DEP_1) | instskip(NEXT) | instid1(VALU_DEP_2)
	v_add_co_u32 v13, vcc_lo, s8, v13
	v_add_co_ci_u32_e32 v14, vcc_lo, s9, v14, vcc_lo
	global_load_b32 v26, v[13:14], off
	s_branch .LBB0_29
.LBB0_28:                               ;   in Loop: Header=BB0_29 Depth=3
	s_or_b32 exec_lo, exec_lo, s42
	v_add_nc_u32_e32 v9, 64, v9
	v_add_nc_u32_e32 v28, s34, v28
	s_delay_alu instid0(VALU_DEP_2) | instskip(SKIP_1) | instid1(SALU_CYCLE_1)
	v_cmp_le_i32_e32 vcc_lo, s14, v9
	s_or_b32 s41, vcc_lo, s41
	s_and_not1_b32 exec_lo, exec_lo, s41
	s_cbranch_execz .LBB0_22
.LBB0_29:                               ;   Parent Loop BB0_14 Depth=1
                                        ;     Parent Loop BB0_24 Depth=2
                                        ; =>    This Loop Header: Depth=3
                                        ;         Child Loop BB0_39 Depth 4
	v_add_nc_u32_e32 v13, v9, v27
	s_and_b32 vcc_lo, exec_lo, s27
	s_cbranch_vccz .LBB0_50
; %bb.30:                               ;   in Loop: Header=BB0_29 Depth=3
	v_add_nc_u32_e32 v14, v9, v27
	v_add_nc_u32_e32 v29, v9, v20
	s_cbranch_execnz .LBB0_32
.LBB0_31:                               ;   in Loop: Header=BB0_29 Depth=3
	s_delay_alu instid0(VALU_DEP_1)
	v_mad_u64_u32 v[14:15], null, v29, s14, v[5:6]
.LBB0_32:                               ;   in Loop: Header=BB0_29 Depth=3
	s_delay_alu instid0(VALU_DEP_1) | instskip(NEXT) | instid1(VALU_DEP_1)
	v_ashrrev_i32_e32 v15, 31, v14
	v_lshlrev_b64 v[14:15], 2, v[14:15]
	s_delay_alu instid0(VALU_DEP_1) | instskip(NEXT) | instid1(VALU_DEP_2)
	v_add_co_u32 v14, vcc_lo, s8, v14
	v_add_co_ci_u32_e32 v15, vcc_lo, s9, v15, vcc_lo
	s_and_b32 vcc_lo, exec_lo, s27
	global_load_b32 v15, v[14:15], off
	s_cbranch_vccz .LBB0_51
; %bb.33:                               ;   in Loop: Header=BB0_29 Depth=3
	s_cbranch_execnz .LBB0_35
.LBB0_34:                               ;   in Loop: Header=BB0_29 Depth=3
	v_mad_u64_u32 v[13:14], null, v29, s14, v[5:6]
.LBB0_35:                               ;   in Loop: Header=BB0_29 Depth=3
	s_waitcnt vmcnt(0)
	v_div_scale_f32 v14, null, v26, v26, v15
	v_div_scale_f32 v31, vcc_lo, v15, v26, v15
	s_delay_alu instid0(VALU_DEP_2) | instskip(SKIP_2) | instid1(VALU_DEP_1)
	v_rcp_f32_e32 v29, v14
	s_waitcnt_depctr 0xfff
	v_fma_f32 v30, -v14, v29, 1.0
	v_fmac_f32_e32 v29, v30, v29
	s_delay_alu instid0(VALU_DEP_1) | instskip(NEXT) | instid1(VALU_DEP_1)
	v_mul_f32_e32 v30, v31, v29
	v_fma_f32 v32, -v14, v30, v31
	s_delay_alu instid0(VALU_DEP_1) | instskip(NEXT) | instid1(VALU_DEP_1)
	v_fmac_f32_e32 v30, v32, v29
	v_fma_f32 v31, -v14, v30, v31
	v_ashrrev_i32_e32 v14, 31, v13
	s_delay_alu instid0(VALU_DEP_2) | instskip(NEXT) | instid1(VALU_DEP_2)
	v_div_fmas_f32 v29, v31, v29, v30
	v_lshlrev_b64 v[13:14], 2, v[13:14]
	s_delay_alu instid0(VALU_DEP_2) | instskip(NEXT) | instid1(VALU_DEP_2)
	v_div_fixup_f32 v15, v29, v26, v15
	v_add_co_u32 v13, vcc_lo, s8, v13
	s_delay_alu instid0(VALU_DEP_3)
	v_add_co_ci_u32_e32 v14, vcc_lo, s9, v14, vcc_lo
	global_store_b32 v[13:14], v15, off
	s_and_saveexec_b32 s42, s4
	s_cbranch_execz .LBB0_28
; %bb.36:                               ;   in Loop: Header=BB0_29 Depth=3
	v_mov_b32_e32 v29, v24
	s_mov_b32 s43, 0
	s_branch .LBB0_39
.LBB0_37:                               ;   in Loop: Header=BB0_39 Depth=4
	v_mov_b32_e32 v13, v32
.LBB0_38:                               ;   in Loop: Header=BB0_39 Depth=4
	s_delay_alu instid0(VALU_DEP_1) | instskip(SKIP_3) | instid1(VALU_DEP_3)
	v_ashrrev_i32_e32 v14, 31, v13
	v_add_nc_u32_e32 v29, 1, v29
	s_waitcnt vmcnt(0)
	v_fma_f32 v30, -v15, v30, v33
	v_lshlrev_b64 v[13:14], 2, v[13:14]
	s_delay_alu instid0(VALU_DEP_3) | instskip(SKIP_1) | instid1(VALU_DEP_2)
	v_cmp_le_i32_e32 vcc_lo, s14, v29
	s_or_b32 s43, vcc_lo, s43
	v_add_co_u32 v13, s5, s8, v13
	s_delay_alu instid0(VALU_DEP_1)
	v_add_co_ci_u32_e64 v14, s5, s9, v14, s5
	global_store_b32 v[13:14], v30, off
	s_and_not1_b32 exec_lo, exec_lo, s43
	s_cbranch_execz .LBB0_28
.LBB0_39:                               ;   Parent Loop BB0_14 Depth=1
                                        ;     Parent Loop BB0_24 Depth=2
                                        ;       Parent Loop BB0_29 Depth=3
                                        ; =>      This Inner Loop Header: Depth=4
	s_and_b32 vcc_lo, exec_lo, s27
	s_cbranch_vccz .LBB0_47
; %bb.40:                               ;   in Loop: Header=BB0_39 Depth=4
	v_add_nc_u32_e32 v30, v29, v23
	s_delay_alu instid0(VALU_DEP_1)
	v_mad_u64_u32 v[13:14], null, v30, s14, v[5:6]
	s_cbranch_execnz .LBB0_42
.LBB0_41:                               ;   in Loop: Header=BB0_39 Depth=4
	v_add_nc_u32_e32 v13, v25, v29
.LBB0_42:                               ;   in Loop: Header=BB0_39 Depth=4
	s_delay_alu instid0(VALU_DEP_1) | instskip(SKIP_1) | instid1(VALU_DEP_2)
	v_ashrrev_i32_e32 v14, 31, v13
	v_add_nc_u32_e32 v31, v29, v20
	v_lshlrev_b64 v[13:14], 2, v[13:14]
	s_delay_alu instid0(VALU_DEP_1) | instskip(NEXT) | instid1(VALU_DEP_2)
	v_add_co_u32 v13, vcc_lo, s8, v13
	v_add_co_ci_u32_e32 v14, vcc_lo, s9, v14, vcc_lo
	s_and_b32 vcc_lo, exec_lo, s27
	global_load_b32 v30, v[13:14], off
	s_cbranch_vccz .LBB0_48
; %bb.43:                               ;   in Loop: Header=BB0_39 Depth=4
	v_mad_u64_u32 v[13:14], null, v31, s14, v[9:10]
	v_add_nc_u32_e32 v32, v28, v29
	s_cbranch_execnz .LBB0_45
.LBB0_44:                               ;   in Loop: Header=BB0_39 Depth=4
	v_add_nc_u32_e32 v13, v28, v29
.LBB0_45:                               ;   in Loop: Header=BB0_39 Depth=4
	s_delay_alu instid0(VALU_DEP_1) | instskip(NEXT) | instid1(VALU_DEP_1)
	v_ashrrev_i32_e32 v14, 31, v13
	v_lshlrev_b64 v[13:14], 2, v[13:14]
	s_delay_alu instid0(VALU_DEP_1) | instskip(NEXT) | instid1(VALU_DEP_2)
	v_add_co_u32 v13, vcc_lo, s8, v13
	v_add_co_ci_u32_e32 v14, vcc_lo, s9, v14, vcc_lo
	s_and_b32 vcc_lo, exec_lo, s27
	global_load_b32 v33, v[13:14], off
	s_cbranch_vccz .LBB0_49
; %bb.46:                               ;   in Loop: Header=BB0_39 Depth=4
	v_mad_u64_u32 v[13:14], null, v31, s14, v[9:10]
	s_cbranch_execnz .LBB0_38
	s_branch .LBB0_37
.LBB0_47:                               ;   in Loop: Header=BB0_39 Depth=4
                                        ; implicit-def: $vgpr13
	s_branch .LBB0_41
.LBB0_48:                               ;   in Loop: Header=BB0_39 Depth=4
                                        ; implicit-def: $vgpr13
	v_add_nc_u32_e32 v32, v28, v29
	s_branch .LBB0_44
.LBB0_49:                               ;   in Loop: Header=BB0_39 Depth=4
                                        ; implicit-def: $vgpr13
	s_branch .LBB0_37
.LBB0_50:                               ;   in Loop: Header=BB0_29 Depth=3
                                        ; implicit-def: $vgpr14
	v_add_nc_u32_e32 v29, v9, v20
	s_branch .LBB0_31
.LBB0_51:                               ;   in Loop: Header=BB0_29 Depth=3
                                        ; implicit-def: $vgpr13
	s_branch .LBB0_34
.LBB0_52:                               ;   in Loop: Header=BB0_14 Depth=1
	s_or_b32 exec_lo, exec_lo, s39
.LBB0_53:                               ;   in Loop: Header=BB0_14 Depth=1
	v_subrev_nc_u32_e32 v9, s24, v22
	v_add_nc_u32_e32 v13, 1, v21
	s_mov_b32 s4, exec_lo
	s_delay_alu instid0(VALU_DEP_1)
	v_cmpx_lt_i32_e64 v13, v9
	s_cbranch_execz .LBB0_12
; %bb.54:                               ;   in Loop: Header=BB0_14 Depth=1
	v_mul_lo_u32 v21, s33, v13
	s_mov_b32 s5, 0
	s_branch .LBB0_57
.LBB0_55:                               ;   in Loop: Header=BB0_57 Depth=2
	s_or_b32 exec_lo, exec_lo, s39
.LBB0_56:                               ;   in Loop: Header=BB0_57 Depth=2
	v_add_nc_u32_e32 v13, 1, v13
	v_add_nc_u32_e32 v21, s33, v21
	s_delay_alu instid0(VALU_DEP_2) | instskip(SKIP_1) | instid1(SALU_CYCLE_1)
	v_cmp_ge_i32_e32 vcc_lo, v13, v9
	s_or_b32 s5, vcc_lo, s5
	s_and_not1_b32 exec_lo, exec_lo, s5
	s_cbranch_execz .LBB0_12
.LBB0_57:                               ;   Parent Loop BB0_14 Depth=1
                                        ; =>  This Loop Header: Depth=2
                                        ;       Child Loop BB0_62 Depth 3
                                        ;       Child Loop BB0_69 Depth 3
                                        ;         Child Loop BB0_72 Depth 4
                                        ;           Child Loop BB0_74 Depth 5
	v_ashrrev_i32_e32 v14, 31, v13
	s_delay_alu instid0(VALU_DEP_1) | instskip(NEXT) | instid1(VALU_DEP_1)
	v_lshlrev_b64 v[14:15], 2, v[13:14]
	v_add_co_u32 v14, vcc_lo, s6, v14
	s_delay_alu instid0(VALU_DEP_2)
	v_add_co_ci_u32_e32 v15, vcc_lo, s7, v15, vcc_lo
	s_waitcnt lgkmcnt(0)
	global_load_b32 v5, v[14:15], off
	v_mov_b32_e32 v15, s21
	s_and_saveexec_b32 s39, s2
	s_cbranch_execz .LBB0_59
; %bb.58:                               ;   in Loop: Header=BB0_57 Depth=2
	global_load_b32 v14, v[11:12], off
	s_waitcnt vmcnt(0)
	v_subrev_nc_u32_e32 v15, s24, v14
.LBB0_59:                               ;   in Loop: Header=BB0_57 Depth=2
	s_or_b32 exec_lo, exec_lo, s39
	s_waitcnt vmcnt(0)
	v_subrev_nc_u32_e32 v5, s24, v5
	v_mov_b32_e32 v22, v10
	s_mov_b32 s39, exec_lo
	s_delay_alu instid0(VALU_DEP_2)
	v_cmpx_lt_i32_e64 v15, v5
	s_cbranch_execz .LBB0_65
; %bb.60:                               ;   in Loop: Header=BB0_57 Depth=2
	v_mov_b32_e32 v14, v10
	s_mov_b32 s40, 0
	s_branch .LBB0_62
	.p2align	6
.LBB0_61:                               ;   in Loop: Header=BB0_62 Depth=3
	s_or_b32 exec_lo, exec_lo, s41
	s_delay_alu instid0(VALU_DEP_1) | instskip(SKIP_2) | instid1(SALU_CYCLE_1)
	v_cmp_ge_i32_e32 vcc_lo, v15, v5
	v_mov_b32_e32 v14, v22
	s_or_b32 s40, vcc_lo, s40
	s_and_not1_b32 exec_lo, exec_lo, s40
	s_cbranch_execz .LBB0_64
.LBB0_62:                               ;   Parent Loop BB0_14 Depth=1
                                        ;     Parent Loop BB0_57 Depth=2
                                        ; =>    This Inner Loop Header: Depth=3
	s_delay_alu instid0(VALU_DEP_1) | instskip(SKIP_1) | instid1(VALU_DEP_1)
	v_dual_mov_b32 v15, s21 :: v_dual_add_nc_u32 v22, 64, v14
	s_mov_b32 s41, exec_lo
	v_cmpx_lt_i32_e64 v22, v16
	s_cbranch_execz .LBB0_61
; %bb.63:                               ;   in Loop: Header=BB0_62 Depth=3
	v_ashrrev_i32_e32 v15, 31, v14
	s_delay_alu instid0(VALU_DEP_1) | instskip(NEXT) | instid1(VALU_DEP_1)
	v_lshlrev_b64 v[14:15], 2, v[14:15]
	v_add_co_u32 v14, vcc_lo, s30, v14
	s_delay_alu instid0(VALU_DEP_2)
	v_add_co_ci_u32_e32 v15, vcc_lo, s31, v15, vcc_lo
	global_load_b32 v14, v[14:15], off
	s_waitcnt vmcnt(0)
	v_subrev_nc_u32_e32 v15, s24, v14
	s_branch .LBB0_61
.LBB0_64:                               ;   in Loop: Header=BB0_57 Depth=2
	s_or_b32 exec_lo, exec_lo, s40
.LBB0_65:                               ;   in Loop: Header=BB0_57 Depth=2
	s_delay_alu instid0(SALU_CYCLE_1)
	s_or_b32 exec_lo, exec_lo, s39
	v_cmp_eq_u32_e32 vcc_lo, v15, v5
	s_cbranch_vccz .LBB0_56
; %bb.66:                               ;   in Loop: Header=BB0_57 Depth=2
	s_ctz_i32_b32 s39, vcc_lo
	s_delay_alu instid0(SALU_CYCLE_1) | instskip(NEXT) | instid1(SALU_CYCLE_1)
	s_lshl_b32 s39, s39, 2
	v_mov_b32_e32 v5, s39
	ds_bpermute_b32 v5, v5, v22
	s_and_saveexec_b32 s39, s0
	s_cbranch_execz .LBB0_55
; %bb.67:                               ;   in Loop: Header=BB0_57 Depth=2
	v_mul_lo_u32 v22, v13, s14
	s_waitcnt lgkmcnt(0)
	v_mul_lo_u32 v23, v5, s14
	v_dual_mov_b32 v24, v19 :: v_dual_mov_b32 v5, v0
	s_mov_b32 s40, 0
	s_branch .LBB0_69
.LBB0_68:                               ;   in Loop: Header=BB0_69 Depth=3
	v_add_nc_u32_e32 v5, 64, v5
	v_add_nc_u32_e32 v24, s34, v24
	s_delay_alu instid0(VALU_DEP_2) | instskip(SKIP_1) | instid1(SALU_CYCLE_1)
	v_cmp_le_i32_e32 vcc_lo, s14, v5
	s_or_b32 s40, vcc_lo, s40
	s_and_not1_b32 exec_lo, exec_lo, s40
	s_cbranch_execz .LBB0_55
.LBB0_69:                               ;   Parent Loop BB0_14 Depth=1
                                        ;     Parent Loop BB0_57 Depth=2
                                        ; =>    This Loop Header: Depth=3
                                        ;         Child Loop BB0_72 Depth 4
                                        ;           Child Loop BB0_74 Depth 5
	s_delay_alu instid0(VALU_DEP_1) | instskip(SKIP_2) | instid1(VALU_DEP_2)
	v_add_nc_u32_e32 v14, v5, v23
	v_mov_b32_e32 v26, v21
	s_mov_b32 s41, 0
	v_mul_lo_u32 v25, v14, s14
	s_branch .LBB0_72
.LBB0_70:                               ;   in Loop: Header=BB0_72 Depth=4
	v_add_nc_u32_e32 v14, s41, v25
.LBB0_71:                               ;   in Loop: Header=BB0_72 Depth=4
	s_delay_alu instid0(VALU_DEP_1) | instskip(SKIP_3) | instid1(VALU_DEP_2)
	v_ashrrev_i32_e32 v15, 31, v14
	s_add_i32 s41, s41, 1
	v_add_nc_u32_e32 v26, 1, v26
	s_cmp_eq_u32 s41, s14
	v_lshlrev_b64 v[14:15], 2, v[14:15]
	s_delay_alu instid0(VALU_DEP_1) | instskip(NEXT) | instid1(VALU_DEP_2)
	v_add_co_u32 v14, vcc_lo, s8, v14
	v_add_co_ci_u32_e32 v15, vcc_lo, s9, v15, vcc_lo
	global_load_b32 v28, v[14:15], off
	s_waitcnt vmcnt(0)
	v_sub_f32_e32 v27, v28, v27
	global_store_b32 v[14:15], v27, off
	s_cbranch_scc1 .LBB0_68
.LBB0_72:                               ;   Parent Loop BB0_14 Depth=1
                                        ;     Parent Loop BB0_57 Depth=2
                                        ;       Parent Loop BB0_69 Depth=3
                                        ; =>      This Loop Header: Depth=4
                                        ;           Child Loop BB0_74 Depth 5
	v_dual_mov_b32 v27, 0 :: v_dual_add_nc_u32 v14, s41, v22
	v_mov_b32_e32 v29, v26
	s_mov_b32 s42, 0
	s_delay_alu instid0(VALU_DEP_2)
	v_mul_lo_u32 v28, v14, s14
	s_set_inst_prefetch_distance 0x1
	s_branch .LBB0_74
	.p2align	6
.LBB0_73:                               ;   in Loop: Header=BB0_74 Depth=5
	s_delay_alu instid0(VALU_DEP_1) | instskip(SKIP_2) | instid1(SALU_CYCLE_1)
	v_ashrrev_i32_e32 v15, 31, v14
	v_add_nc_u32_e32 v29, s14, v29
	s_add_i32 s42, s42, 1
	s_cmp_eq_u32 s14, s42
	s_delay_alu instid0(VALU_DEP_2) | instskip(NEXT) | instid1(VALU_DEP_1)
	v_lshlrev_b64 v[14:15], 2, v[14:15]
	v_add_co_u32 v14, vcc_lo, s8, v14
	s_delay_alu instid0(VALU_DEP_2)
	v_add_co_ci_u32_e32 v15, vcc_lo, s9, v15, vcc_lo
	global_load_b32 v14, v[14:15], off
	s_waitcnt vmcnt(0)
	v_fmac_f32_e32 v27, v30, v14
	s_cbranch_scc1 .LBB0_80
.LBB0_74:                               ;   Parent Loop BB0_14 Depth=1
                                        ;     Parent Loop BB0_57 Depth=2
                                        ;       Parent Loop BB0_69 Depth=3
                                        ;         Parent Loop BB0_72 Depth=4
                                        ; =>        This Inner Loop Header: Depth=5
	s_and_b32 vcc_lo, exec_lo, s27
	s_cbranch_vccz .LBB0_79
; %bb.75:                               ;   in Loop: Header=BB0_74 Depth=5
	v_add_nc_u32_e32 v30, s42, v20
	s_delay_alu instid0(VALU_DEP_1)
	v_mad_u64_u32 v[14:15], null, v30, s14, v[5:6]
	s_cbranch_execnz .LBB0_77
.LBB0_76:                               ;   in Loop: Header=BB0_74 Depth=5
	v_add_nc_u32_e32 v14, s42, v24
.LBB0_77:                               ;   in Loop: Header=BB0_74 Depth=5
	s_delay_alu instid0(VALU_DEP_1) | instskip(NEXT) | instid1(VALU_DEP_1)
	v_ashrrev_i32_e32 v15, 31, v14
	v_lshlrev_b64 v[14:15], 2, v[14:15]
	s_delay_alu instid0(VALU_DEP_1) | instskip(NEXT) | instid1(VALU_DEP_2)
	v_add_co_u32 v14, vcc_lo, s8, v14
	v_add_co_ci_u32_e32 v15, vcc_lo, s9, v15, vcc_lo
	s_and_not1_b32 vcc_lo, exec_lo, s27
	global_load_b32 v30, v[14:15], off
	v_mov_b32_e32 v14, v29
	s_cbranch_vccnz .LBB0_73
; %bb.78:                               ;   in Loop: Header=BB0_74 Depth=5
	v_add_nc_u32_e32 v14, s42, v28
	s_branch .LBB0_73
	.p2align	6
.LBB0_79:                               ;   in Loop: Header=BB0_74 Depth=5
                                        ; implicit-def: $vgpr14
	s_branch .LBB0_76
.LBB0_80:                               ;   in Loop: Header=BB0_72 Depth=4
	s_set_inst_prefetch_distance 0x2
	s_and_b32 vcc_lo, exec_lo, s27
	s_cbranch_vccz .LBB0_82
; %bb.81:                               ;   in Loop: Header=BB0_72 Depth=4
	v_add_nc_u32_e32 v28, s41, v23
	s_delay_alu instid0(VALU_DEP_1)
	v_mad_u64_u32 v[14:15], null, v28, s14, v[5:6]
	s_cbranch_execnz .LBB0_71
	s_branch .LBB0_70
.LBB0_82:                               ;   in Loop: Header=BB0_72 Depth=4
                                        ; implicit-def: $vgpr14
	s_branch .LBB0_70
.LBB0_83:
	s_or_b32 exec_lo, exec_lo, s35
	s_delay_alu instid0(SALU_CYCLE_1)
	s_and_b32 s3, s36, exec_lo
.LBB0_84:
	s_or_b32 exec_lo, exec_lo, s22
	s_waitcnt lgkmcnt(0)
	v_ashrrev_i32_e32 v5, 31, v4
	s_cmp_gt_i32 s14, 0
	s_cselect_b32 s4, -1, 0
	s_delay_alu instid0(VALU_DEP_1) | instskip(NEXT) | instid1(VALU_DEP_1)
	v_lshlrev_b64 v[8:9], 2, v[4:5]
	v_add_co_u32 v8, vcc_lo, s6, v8
	s_delay_alu instid0(VALU_DEP_2) | instskip(SKIP_4) | instid1(VALU_DEP_1)
	v_add_co_ci_u32_e32 v9, vcc_lo, s7, v9, vcc_lo
	s_mov_b32 s6, 0
	global_load_b32 v5, v[8:9], off
	s_waitcnt vmcnt(0)
	v_subrev_nc_u32_e32 v5, s24, v5
	v_cmp_eq_u32_e32 vcc_lo, v5, v1
	s_and_b32 s0, s4, vcc_lo
	s_delay_alu instid0(SALU_CYCLE_1)
	s_and_saveexec_b32 s5, s0
	s_cbranch_execz .LBB0_124
; %bb.85:
	v_cvt_f64_f32_e32 v[8:9], v18
	v_mul_lo_u32 v12, v4, s14
	s_cmp_eq_u64 s[16:17], 8
	v_cmp_eq_u32_e64 s0, 0, v0
	s_cselect_b32 vcc_lo, -1, 0
	v_mov_b32_e32 v5, 0
	s_cmp_lg_u32 s20, 0
	s_mov_b32 s16, s3
	s_cselect_b32 s7, -1, 0
	v_add3_u32 v13, v12, v0, 1
	s_lshl_b32 s10, s14, 6
                                        ; implicit-def: $sgpr11
	v_dual_cndmask_b32 v6, v8, v6 :: v_dual_cndmask_b32 v7, v9, v7
	s_branch .LBB0_87
.LBB0_86:                               ;   in Loop: Header=BB0_87 Depth=1
	s_or_b32 exec_lo, exec_lo, s1
	s_delay_alu instid0(VALU_DEP_1) | instskip(SKIP_4) | instid1(SALU_CYCLE_1)
	v_cmp_eq_u32_e32 vcc_lo, s14, v18
	v_mov_b32_e32 v5, v18
	s_or_b32 s6, vcc_lo, s6
	s_and_not1_b32 s1, s11, exec_lo
	s_and_b32 s2, s16, exec_lo
	s_or_b32 s11, s1, s2
	s_and_not1_b32 exec_lo, exec_lo, s6
	s_cbranch_execz .LBB0_123
.LBB0_87:                               ; =>This Loop Header: Depth=1
                                        ;     Child Loop BB0_97 Depth 2
                                        ;       Child Loop BB0_107 Depth 3
	v_add_nc_u32_e32 v8, v5, v12
	s_mov_b32 s17, 0
	s_delay_alu instid0(VALU_DEP_1) | instskip(NEXT) | instid1(VALU_DEP_1)
	v_mul_lo_u32 v14, v8, s14
	v_add_nc_u32_e32 v8, v14, v5
	s_delay_alu instid0(VALU_DEP_1) | instskip(NEXT) | instid1(VALU_DEP_1)
	v_ashrrev_i32_e32 v9, 31, v8
	v_lshlrev_b64 v[8:9], 2, v[8:9]
	s_delay_alu instid0(VALU_DEP_1) | instskip(NEXT) | instid1(VALU_DEP_2)
	v_add_co_u32 v8, vcc_lo, s8, v8
	v_add_co_ci_u32_e32 v9, vcc_lo, s9, v9, vcc_lo
	s_and_not1_b32 vcc_lo, exec_lo, s26
	global_load_b32 v15, v[8:9], off
	s_cbranch_vccnz .LBB0_92
; %bb.88:                               ;   in Loop: Header=BB0_87 Depth=1
	s_waitcnt vmcnt(0)
	v_cmp_gt_f32_e32 vcc_lo, 0, v15
	v_cndmask_b32_e64 v10, v15, -v15, vcc_lo
	s_delay_alu instid0(VALU_DEP_1) | instskip(NEXT) | instid1(VALU_DEP_1)
	v_cvt_f64_f32_e32 v[10:11], v10
	v_cmp_ge_f64_e32 vcc_lo, v[6:7], v[10:11]
	v_cndmask_b32_e32 v10, v15, v17, vcc_lo
	s_and_saveexec_b32 s1, s0
	s_cbranch_execz .LBB0_90
; %bb.89:                               ;   in Loop: Header=BB0_87 Depth=1
	global_store_b32 v[8:9], v10, off
.LBB0_90:                               ;   in Loop: Header=BB0_87 Depth=1
	s_or_b32 exec_lo, exec_lo, s1
	s_mov_b32 s1, -1
	s_cbranch_execz .LBB0_93
; %bb.91:                               ;   in Loop: Header=BB0_87 Depth=1
	s_waitcnt vmcnt(0)
	v_mov_b32_e32 v15, v10
                                        ; implicit-def: $sgpr2
                                        ; implicit-def: $vgpr18
	s_and_saveexec_b32 s21, s1
	s_delay_alu instid0(SALU_CYCLE_1)
	s_xor_b32 s21, exec_lo, s21
	s_cbranch_execz .LBB0_121
	s_branch .LBB0_94
.LBB0_92:                               ;   in Loop: Header=BB0_87 Depth=1
	s_mov_b32 s1, 0
                                        ; implicit-def: $vgpr10
.LBB0_93:                               ;   in Loop: Header=BB0_87 Depth=1
	s_waitcnt vmcnt(0)
	v_cmp_neq_f32_e32 vcc_lo, 0, v15
	s_and_not1_b32 s1, s1, exec_lo
	s_mov_b32 s17, -1
	s_and_b32 s2, vcc_lo, exec_lo
	s_delay_alu instid0(SALU_CYCLE_1) | instskip(NEXT) | instid1(SALU_CYCLE_1)
	s_or_b32 s1, s1, s2
                                        ; implicit-def: $sgpr2
                                        ; implicit-def: $vgpr18
	s_and_saveexec_b32 s21, s1
	s_delay_alu instid0(SALU_CYCLE_1)
	s_xor_b32 s21, exec_lo, s21
	s_cbranch_execz .LBB0_121
.LBB0_94:                               ;   in Loop: Header=BB0_87 Depth=1
	v_add_nc_u32_e32 v18, 1, v5
	s_mov_b32 s22, exec_lo
	s_delay_alu instid0(VALU_DEP_1) | instskip(NEXT) | instid1(VALU_DEP_1)
	v_add_nc_u32_e32 v8, v18, v0
	v_cmpx_gt_i32_e64 s14, v8
	s_cbranch_execz .LBB0_120
; %bb.95:                               ;   in Loop: Header=BB0_87 Depth=1
	v_add_nc_u32_e32 v9, v13, v5
	v_cmp_gt_i32_e64 s1, s14, v18
	s_mov_b32 s23, 0
	s_delay_alu instid0(VALU_DEP_2)
	v_mul_lo_u32 v19, s14, v9
	s_branch .LBB0_97
.LBB0_96:                               ;   in Loop: Header=BB0_97 Depth=2
	s_or_b32 exec_lo, exec_lo, s25
	v_add_nc_u32_e32 v8, 64, v8
	v_add_nc_u32_e32 v19, s10, v19
	s_delay_alu instid0(VALU_DEP_2) | instskip(SKIP_1) | instid1(SALU_CYCLE_1)
	v_cmp_le_i32_e32 vcc_lo, s14, v8
	s_or_b32 s23, vcc_lo, s23
	s_and_not1_b32 exec_lo, exec_lo, s23
	s_cbranch_execz .LBB0_120
.LBB0_97:                               ;   Parent Loop BB0_87 Depth=1
                                        ; =>  This Loop Header: Depth=2
                                        ;       Child Loop BB0_107 Depth 3
	v_add_nc_u32_e32 v9, v8, v14
	s_and_b32 vcc_lo, exec_lo, s7
	s_cbranch_vccz .LBB0_118
; %bb.98:                               ;   in Loop: Header=BB0_97 Depth=2
	v_add_nc_u32_e32 v10, v8, v14
	s_cbranch_execnz .LBB0_100
.LBB0_99:                               ;   in Loop: Header=BB0_97 Depth=2
	v_add_nc_u32_e32 v20, v8, v12
	s_delay_alu instid0(VALU_DEP_1)
	v_mad_u64_u32 v[10:11], null, v20, s14, v[5:6]
.LBB0_100:                              ;   in Loop: Header=BB0_97 Depth=2
	s_delay_alu instid0(VALU_DEP_1) | instskip(NEXT) | instid1(VALU_DEP_1)
	v_ashrrev_i32_e32 v11, 31, v10
	v_lshlrev_b64 v[10:11], 2, v[10:11]
	s_delay_alu instid0(VALU_DEP_1) | instskip(NEXT) | instid1(VALU_DEP_2)
	v_add_co_u32 v10, vcc_lo, s8, v10
	v_add_co_ci_u32_e32 v11, vcc_lo, s9, v11, vcc_lo
	s_and_b32 vcc_lo, exec_lo, s7
	global_load_b32 v11, v[10:11], off
	s_cbranch_vccz .LBB0_119
; %bb.101:                              ;   in Loop: Header=BB0_97 Depth=2
	s_cbranch_execnz .LBB0_103
.LBB0_102:                              ;   in Loop: Header=BB0_97 Depth=2
	v_add_nc_u32_e32 v20, v8, v12
	s_delay_alu instid0(VALU_DEP_1)
	v_mad_u64_u32 v[9:10], null, v20, s14, v[5:6]
.LBB0_103:                              ;   in Loop: Header=BB0_97 Depth=2
	s_waitcnt vmcnt(0)
	v_div_scale_f32 v10, null, v15, v15, v11
	v_div_scale_f32 v22, vcc_lo, v11, v15, v11
	s_delay_alu instid0(VALU_DEP_2) | instskip(SKIP_2) | instid1(VALU_DEP_1)
	v_rcp_f32_e32 v20, v10
	s_waitcnt_depctr 0xfff
	v_fma_f32 v21, -v10, v20, 1.0
	v_fmac_f32_e32 v20, v21, v20
	s_delay_alu instid0(VALU_DEP_1) | instskip(NEXT) | instid1(VALU_DEP_1)
	v_mul_f32_e32 v21, v22, v20
	v_fma_f32 v23, -v10, v21, v22
	s_delay_alu instid0(VALU_DEP_1) | instskip(NEXT) | instid1(VALU_DEP_1)
	v_fmac_f32_e32 v21, v23, v20
	v_fma_f32 v22, -v10, v21, v22
	v_ashrrev_i32_e32 v10, 31, v9
	s_delay_alu instid0(VALU_DEP_2) | instskip(NEXT) | instid1(VALU_DEP_2)
	v_div_fmas_f32 v20, v22, v20, v21
	v_lshlrev_b64 v[9:10], 2, v[9:10]
	s_delay_alu instid0(VALU_DEP_2) | instskip(NEXT) | instid1(VALU_DEP_2)
	v_div_fixup_f32 v11, v20, v15, v11
	v_add_co_u32 v9, vcc_lo, s8, v9
	s_delay_alu instid0(VALU_DEP_3)
	v_add_co_ci_u32_e32 v10, vcc_lo, s9, v10, vcc_lo
	global_store_b32 v[9:10], v11, off
	s_and_saveexec_b32 s25, s1
	s_cbranch_execz .LBB0_96
; %bb.104:                              ;   in Loop: Header=BB0_97 Depth=2
	v_mov_b32_e32 v20, v18
	s_mov_b32 s27, 0
	s_branch .LBB0_107
.LBB0_105:                              ;   in Loop: Header=BB0_107 Depth=3
	v_add_nc_u32_e32 v9, v19, v20
.LBB0_106:                              ;   in Loop: Header=BB0_107 Depth=3
	s_delay_alu instid0(VALU_DEP_1) | instskip(SKIP_3) | instid1(VALU_DEP_3)
	v_ashrrev_i32_e32 v10, 31, v9
	v_add_nc_u32_e32 v20, 1, v20
	s_waitcnt vmcnt(0)
	v_fma_f32 v21, -v11, v22, v23
	v_lshlrev_b64 v[9:10], 2, v[9:10]
	s_delay_alu instid0(VALU_DEP_3) | instskip(SKIP_1) | instid1(VALU_DEP_2)
	v_cmp_le_i32_e32 vcc_lo, s14, v20
	s_or_b32 s27, vcc_lo, s27
	v_add_co_u32 v9, s2, s8, v9
	s_delay_alu instid0(VALU_DEP_1)
	v_add_co_ci_u32_e64 v10, s2, s9, v10, s2
	global_store_b32 v[9:10], v21, off
	s_and_not1_b32 exec_lo, exec_lo, s27
	s_cbranch_execz .LBB0_96
.LBB0_107:                              ;   Parent Loop BB0_87 Depth=1
                                        ;     Parent Loop BB0_97 Depth=2
                                        ; =>    This Inner Loop Header: Depth=3
	s_delay_alu instid0(VALU_DEP_1)
	v_add_nc_u32_e32 v21, v20, v12
	s_and_b32 vcc_lo, exec_lo, s7
	s_cbranch_vccz .LBB0_115
; %bb.108:                              ;   in Loop: Header=BB0_107 Depth=3
	s_delay_alu instid0(VALU_DEP_1)
	v_mad_u64_u32 v[9:10], null, v21, s14, v[5:6]
	s_cbranch_execnz .LBB0_110
.LBB0_109:                              ;   in Loop: Header=BB0_107 Depth=3
	v_add_nc_u32_e32 v9, v14, v20
.LBB0_110:                              ;   in Loop: Header=BB0_107 Depth=3
	s_delay_alu instid0(VALU_DEP_1) | instskip(NEXT) | instid1(VALU_DEP_1)
	v_ashrrev_i32_e32 v10, 31, v9
	v_lshlrev_b64 v[9:10], 2, v[9:10]
	s_delay_alu instid0(VALU_DEP_1) | instskip(NEXT) | instid1(VALU_DEP_2)
	v_add_co_u32 v9, vcc_lo, s8, v9
	v_add_co_ci_u32_e32 v10, vcc_lo, s9, v10, vcc_lo
	s_and_b32 vcc_lo, exec_lo, s7
	global_load_b32 v22, v[9:10], off
	s_cbranch_vccz .LBB0_116
; %bb.111:                              ;   in Loop: Header=BB0_107 Depth=3
	v_mad_u64_u32 v[9:10], null, v21, s14, v[8:9]
	s_cbranch_execnz .LBB0_113
.LBB0_112:                              ;   in Loop: Header=BB0_107 Depth=3
	v_add_nc_u32_e32 v9, v19, v20
.LBB0_113:                              ;   in Loop: Header=BB0_107 Depth=3
	s_delay_alu instid0(VALU_DEP_1) | instskip(NEXT) | instid1(VALU_DEP_1)
	v_ashrrev_i32_e32 v10, 31, v9
	v_lshlrev_b64 v[9:10], 2, v[9:10]
	s_delay_alu instid0(VALU_DEP_1) | instskip(NEXT) | instid1(VALU_DEP_2)
	v_add_co_u32 v9, vcc_lo, s8, v9
	v_add_co_ci_u32_e32 v10, vcc_lo, s9, v10, vcc_lo
	s_and_b32 vcc_lo, exec_lo, s7
	global_load_b32 v23, v[9:10], off
	s_cbranch_vccz .LBB0_117
; %bb.114:                              ;   in Loop: Header=BB0_107 Depth=3
	v_mad_u64_u32 v[9:10], null, v21, s14, v[8:9]
	s_cbranch_execnz .LBB0_106
	s_branch .LBB0_105
.LBB0_115:                              ;   in Loop: Header=BB0_107 Depth=3
                                        ; implicit-def: $vgpr9
	s_branch .LBB0_109
.LBB0_116:                              ;   in Loop: Header=BB0_107 Depth=3
                                        ; implicit-def: $vgpr9
	s_branch .LBB0_112
.LBB0_117:                              ;   in Loop: Header=BB0_107 Depth=3
                                        ; implicit-def: $vgpr9
	s_branch .LBB0_105
.LBB0_118:                              ;   in Loop: Header=BB0_97 Depth=2
                                        ; implicit-def: $vgpr10
	s_branch .LBB0_99
.LBB0_119:                              ;   in Loop: Header=BB0_97 Depth=2
                                        ; implicit-def: $vgpr9
	s_branch .LBB0_102
.LBB0_120:                              ;   in Loop: Header=BB0_87 Depth=1
	s_or_b32 exec_lo, exec_lo, s22
	s_delay_alu instid0(SALU_CYCLE_1)
	s_and_b32 s2, s16, exec_lo
	s_and_not1_b32 s17, s17, exec_lo
.LBB0_121:                              ;   in Loop: Header=BB0_87 Depth=1
	s_or_b32 exec_lo, exec_lo, s21
	s_delay_alu instid0(SALU_CYCLE_1) | instskip(SKIP_1) | instid1(SALU_CYCLE_1)
	s_and_not1_b32 s1, s16, exec_lo
	s_and_b32 s2, s2, exec_lo
	s_or_b32 s16, s1, s2
	s_and_saveexec_b32 s1, s17
	s_cbranch_execz .LBB0_86
; %bb.122:                              ;   in Loop: Header=BB0_87 Depth=1
	v_add_nc_u32_e32 v18, 1, v5
	s_or_b32 s16, s16, exec_lo
	s_branch .LBB0_86
.LBB0_123:
	s_or_b32 exec_lo, exec_lo, s6
	s_delay_alu instid0(SALU_CYCLE_1) | instskip(SKIP_1) | instid1(SALU_CYCLE_1)
	s_and_not1_b32 s0, s3, exec_lo
	s_and_b32 s1, s11, exec_lo
	s_or_b32 s3, s0, s1
.LBB0_124:
	s_or_b32 exec_lo, exec_lo, s5
	v_add_nc_u32_e32 v9, 1, v4
	s_mov_b32 s1, exec_lo
	s_delay_alu instid0(VALU_DEP_1)
	v_cmpx_lt_i32_e64 v9, v16
	s_cbranch_execz .LBB0_148
; %bb.125:
	v_mul_lo_u32 v10, v4, s14
	s_mul_i32 s2, s14, s14
	v_cmp_gt_i32_e64 s0, s14, v0
	v_mul_lo_u32 v6, s2, v9
	s_cmp_lg_u32 s20, 0
	s_mov_b32 s5, 0
	s_cselect_b32 s6, -1, 0
	s_add_i32 s7, s14, 1
	v_mad_u64_u32 v[4:5], null, s14, v10, s[14:15]
	s_delay_alu instid0(VALU_DEP_2)
	v_add3_u32 v11, v6, s14, v0
	s_branch .LBB0_127
.LBB0_126:                              ;   in Loop: Header=BB0_127 Depth=1
	v_add_nc_u32_e32 v9, 1, v9
	v_add_nc_u32_e32 v11, s2, v11
	s_delay_alu instid0(VALU_DEP_2) | instskip(SKIP_1) | instid1(SALU_CYCLE_1)
	v_cmp_ge_i32_e32 vcc_lo, v9, v16
	s_or_b32 s5, vcc_lo, s5
	s_and_not1_b32 exec_lo, exec_lo, s5
	s_cbranch_execz .LBB0_148
.LBB0_127:                              ; =>This Loop Header: Depth=1
                                        ;     Child Loop BB0_130 Depth 2
                                        ;       Child Loop BB0_133 Depth 3
                                        ;         Child Loop BB0_137 Depth 4
	s_and_not1_b32 vcc_lo, exec_lo, s4
	s_cbranch_vccnz .LBB0_126
; %bb.128:                              ;   in Loop: Header=BB0_127 Depth=1
	v_mul_lo_u32 v12, v9, s14
	s_delay_alu instid0(VALU_DEP_3)
	v_dual_mov_b32 v13, v11 :: v_dual_mov_b32 v14, v4
	s_mov_b32 s10, 0
	s_branch .LBB0_130
.LBB0_129:                              ;   in Loop: Header=BB0_130 Depth=2
	s_or_b32 exec_lo, exec_lo, s16
	v_add_nc_u32_e32 v14, s7, v14
	v_add_nc_u32_e32 v13, s14, v13
	s_cmp_eq_u32 s11, s14
	s_mov_b32 s10, s11
	s_cbranch_scc1 .LBB0_126
.LBB0_130:                              ;   Parent Loop BB0_127 Depth=1
                                        ; =>  This Loop Header: Depth=2
                                        ;       Child Loop BB0_133 Depth 3
                                        ;         Child Loop BB0_137 Depth 4
	s_add_i32 s11, s10, 1
	s_and_saveexec_b32 s16, s0
	s_cbranch_execz .LBB0_129
; %bb.131:                              ;   in Loop: Header=BB0_130 Depth=2
	v_dual_mov_b32 v18, v13 :: v_dual_add_nc_u32 v5, s10, v10
	v_dual_mov_b32 v19, v0 :: v_dual_add_nc_u32 v6, s10, v12
	s_cmp_lt_i32 s11, s14
	s_delay_alu instid0(VALU_DEP_2) | instskip(SKIP_1) | instid1(VALU_DEP_2)
	v_mul_lo_u32 v15, v5, s14
	s_cselect_b32 s17, -1, 0
	v_mul_lo_u32 v17, v6, s14
	s_mov_b32 s20, 0
	s_branch .LBB0_133
.LBB0_132:                              ;   in Loop: Header=BB0_133 Depth=3
	v_add_nc_u32_e32 v19, 64, v19
	v_add_nc_u32_e32 v18, 64, v18
	s_delay_alu instid0(VALU_DEP_2) | instskip(SKIP_1) | instid1(SALU_CYCLE_1)
	v_cmp_le_i32_e32 vcc_lo, s14, v19
	s_or_b32 s20, vcc_lo, s20
	s_and_not1_b32 exec_lo, exec_lo, s20
	s_cbranch_execz .LBB0_129
.LBB0_133:                              ;   Parent Loop BB0_127 Depth=1
                                        ;     Parent Loop BB0_130 Depth=2
                                        ; =>    This Loop Header: Depth=3
                                        ;         Child Loop BB0_137 Depth 4
	s_and_not1_b32 vcc_lo, exec_lo, s17
	s_cbranch_vccnz .LBB0_132
; %bb.134:                              ;   in Loop: Header=BB0_133 Depth=3
	v_add_nc_u32_e32 v5, v19, v12
	s_delay_alu instid0(VALU_DEP_2) | instskip(SKIP_2) | instid1(VALU_DEP_2)
	v_add_nc_u32_e32 v22, v19, v17
	s_mov_b32 s21, 0
	s_mov_b32 s22, s11
	v_mul_lo_u32 v20, v5, s14
	s_delay_alu instid0(VALU_DEP_1)
	v_add_nc_u32_e32 v21, s10, v20
	s_branch .LBB0_137
.LBB0_135:                              ;   in Loop: Header=BB0_137 Depth=4
	v_mov_b32_e32 v5, v24
.LBB0_136:                              ;   in Loop: Header=BB0_137 Depth=4
	s_delay_alu instid0(VALU_DEP_1)
	v_ashrrev_i32_e32 v6, 31, v5
	s_waitcnt vmcnt(0)
	v_fma_f32 v7, -v8, v23, v7
	s_add_i32 s22, s22, 1
	s_add_i32 s21, s21, s14
	s_cmp_ge_i32 s22, s14
	v_lshlrev_b64 v[5:6], 2, v[5:6]
	s_delay_alu instid0(VALU_DEP_1) | instskip(NEXT) | instid1(VALU_DEP_2)
	v_add_co_u32 v5, vcc_lo, s8, v5
	v_add_co_ci_u32_e32 v6, vcc_lo, s9, v6, vcc_lo
	global_store_b32 v[5:6], v7, off
	s_cbranch_scc1 .LBB0_132
.LBB0_137:                              ;   Parent Loop BB0_127 Depth=1
                                        ;     Parent Loop BB0_130 Depth=2
                                        ;       Parent Loop BB0_133 Depth=3
                                        ; =>      This Inner Loop Header: Depth=4
	s_and_b32 vcc_lo, exec_lo, s6
	s_cbranch_vccz .LBB0_145
; %bb.138:                              ;   in Loop: Header=BB0_137 Depth=4
	v_add_nc_u32_e32 v5, s22, v15
	v_mov_b32_e32 v7, v21
	s_cbranch_execnz .LBB0_140
.LBB0_139:                              ;   in Loop: Header=BB0_137 Depth=4
	v_add_nc_u32_e32 v5, s21, v14
	v_mov_b32_e32 v7, v22
.LBB0_140:                              ;   in Loop: Header=BB0_137 Depth=4
	s_delay_alu instid0(VALU_DEP_2) | instskip(NEXT) | instid1(VALU_DEP_2)
	v_ashrrev_i32_e32 v6, 31, v5
	v_ashrrev_i32_e32 v8, 31, v7
	s_delay_alu instid0(VALU_DEP_2) | instskip(NEXT) | instid1(VALU_DEP_2)
	v_lshlrev_b64 v[5:6], 2, v[5:6]
	v_lshlrev_b64 v[7:8], 2, v[7:8]
	s_delay_alu instid0(VALU_DEP_2) | instskip(NEXT) | instid1(VALU_DEP_3)
	v_add_co_u32 v5, vcc_lo, s8, v5
	v_add_co_ci_u32_e32 v6, vcc_lo, s9, v6, vcc_lo
	s_delay_alu instid0(VALU_DEP_3) | instskip(NEXT) | instid1(VALU_DEP_4)
	v_add_co_u32 v23, vcc_lo, s8, v7
	v_add_co_ci_u32_e32 v24, vcc_lo, s9, v8, vcc_lo
	s_and_b32 vcc_lo, exec_lo, s6
	s_clause 0x1
	global_load_b32 v8, v[5:6], off
	global_load_b32 v23, v[23:24], off
	v_add_nc_u32_e32 v5, s22, v20
	s_cbranch_vccz .LBB0_146
; %bb.141:                              ;   in Loop: Header=BB0_137 Depth=4
	v_add_nc_u32_e32 v6, s22, v20
	v_add_nc_u32_e32 v24, s21, v18
	s_cbranch_execnz .LBB0_143
.LBB0_142:                              ;   in Loop: Header=BB0_137 Depth=4
	v_add_nc_u32_e32 v6, s21, v18
.LBB0_143:                              ;   in Loop: Header=BB0_137 Depth=4
	s_delay_alu instid0(VALU_DEP_1) | instskip(NEXT) | instid1(VALU_DEP_1)
	v_ashrrev_i32_e32 v7, 31, v6
	v_lshlrev_b64 v[6:7], 2, v[6:7]
	s_delay_alu instid0(VALU_DEP_1) | instskip(NEXT) | instid1(VALU_DEP_2)
	v_add_co_u32 v6, vcc_lo, s8, v6
	v_add_co_ci_u32_e32 v7, vcc_lo, s9, v7, vcc_lo
	s_and_b32 vcc_lo, exec_lo, s6
	global_load_b32 v7, v[6:7], off
	s_cbranch_vccz .LBB0_147
; %bb.144:                              ;   in Loop: Header=BB0_137 Depth=4
	s_cbranch_execnz .LBB0_136
	s_branch .LBB0_135
.LBB0_145:                              ;   in Loop: Header=BB0_137 Depth=4
                                        ; implicit-def: $vgpr5
	s_delay_alu instid0(VALU_DEP_1)
	v_mov_b32_e32 v7, v21
	s_branch .LBB0_139
.LBB0_146:                              ;   in Loop: Header=BB0_137 Depth=4
                                        ; implicit-def: $vgpr6
	v_add_nc_u32_e32 v24, s21, v18
	s_branch .LBB0_142
.LBB0_147:                              ;   in Loop: Header=BB0_137 Depth=4
                                        ; implicit-def: $vgpr5
	s_branch .LBB0_135
.LBB0_148:
	s_or_b32 exec_lo, exec_lo, s1
	s_delay_alu instid0(SALU_CYCLE_1)
	s_or_not1_b32 s2, s3, exec_lo
.LBB0_149:
	s_or_b32 exec_lo, exec_lo, s15
	v_cmp_eq_u32_e32 vcc_lo, 0, v0
	s_and_b32 exec_lo, exec_lo, vcc_lo
	s_cbranch_execz .LBB0_155
; %bb.150:
	v_add_co_u32 v2, vcc_lo, s12, v2
	v_add_co_ci_u32_e32 v3, vcc_lo, s13, v3, vcc_lo
	v_mov_b32_e32 v0, 1
	s_waitcnt_vscnt null, 0x0
	global_store_b32 v[2:3], v0, off
	s_and_b32 exec_lo, exec_lo, s2
	s_cbranch_execz .LBB0_155
; %bb.151:
	v_add_nc_u32_e32 v0, s24, v1
	s_mov_b32 s1, exec_lo
	s_brev_b32 s0, -2
.LBB0_152:                              ; =>This Inner Loop Header: Depth=1
	s_ctz_i32_b32 s2, s1
	s_delay_alu instid0(VALU_DEP_1) | instid1(SALU_CYCLE_1)
	v_readlane_b32 s3, v0, s2
	s_lshl_b32 s2, 1, s2
	s_delay_alu instid0(SALU_CYCLE_1) | instskip(NEXT) | instid1(VALU_DEP_1)
	s_and_not1_b32 s1, s1, s2
	s_min_i32 s0, s0, s3
	s_cmp_lg_u32 s1, 0
	s_cbranch_scc1 .LBB0_152
; %bb.153:
	v_mbcnt_lo_u32_b32 v0, exec_lo, 0
	s_mov_b32 s1, exec_lo
	s_delay_alu instid0(VALU_DEP_1)
	v_cmpx_eq_u32_e32 0, v0
	s_xor_b32 s1, exec_lo, s1
	s_cbranch_execz .LBB0_155
; %bb.154:
	v_dual_mov_b32 v0, 0 :: v_dual_mov_b32 v1, s0
	global_atomic_min_i32 v0, v1, s[18:19]
.LBB0_155:
	s_nop 0
	s_sendmsg sendmsg(MSG_DEALLOC_VGPRS)
	s_endpgm
	.section	.rodata,"a",@progbits
	.p2align	6, 0x0
	.amdhsa_kernel _ZN9rocsparseL15bsrilu0_generalILj128ELj64ELb1EfEEv20rocsparse_direction_iPKiS3_PT2_S3_iPiS3_S6_21rocsparse_index_base_imNS_24const_host_device_scalarIfEENS8_IdEENS8_IS4_EEb
		.amdhsa_group_segment_fixed_size 0
		.amdhsa_private_segment_fixed_size 0
		.amdhsa_kernarg_size 116
		.amdhsa_user_sgpr_count 15
		.amdhsa_user_sgpr_dispatch_ptr 0
		.amdhsa_user_sgpr_queue_ptr 0
		.amdhsa_user_sgpr_kernarg_segment_ptr 1
		.amdhsa_user_sgpr_dispatch_id 0
		.amdhsa_user_sgpr_private_segment_size 0
		.amdhsa_wavefront_size32 1
		.amdhsa_uses_dynamic_stack 0
		.amdhsa_enable_private_segment 0
		.amdhsa_system_sgpr_workgroup_id_x 1
		.amdhsa_system_sgpr_workgroup_id_y 0
		.amdhsa_system_sgpr_workgroup_id_z 0
		.amdhsa_system_sgpr_workgroup_info 0
		.amdhsa_system_vgpr_workitem_id 0
		.amdhsa_next_free_vgpr 34
		.amdhsa_next_free_sgpr 44
		.amdhsa_reserve_vcc 1
		.amdhsa_float_round_mode_32 0
		.amdhsa_float_round_mode_16_64 0
		.amdhsa_float_denorm_mode_32 3
		.amdhsa_float_denorm_mode_16_64 3
		.amdhsa_dx10_clamp 1
		.amdhsa_ieee_mode 1
		.amdhsa_fp16_overflow 0
		.amdhsa_workgroup_processor_mode 1
		.amdhsa_memory_ordered 1
		.amdhsa_forward_progress 0
		.amdhsa_shared_vgpr_count 0
		.amdhsa_exception_fp_ieee_invalid_op 0
		.amdhsa_exception_fp_denorm_src 0
		.amdhsa_exception_fp_ieee_div_zero 0
		.amdhsa_exception_fp_ieee_overflow 0
		.amdhsa_exception_fp_ieee_underflow 0
		.amdhsa_exception_fp_ieee_inexact 0
		.amdhsa_exception_int_div_zero 0
	.end_amdhsa_kernel
	.section	.text._ZN9rocsparseL15bsrilu0_generalILj128ELj64ELb1EfEEv20rocsparse_direction_iPKiS3_PT2_S3_iPiS3_S6_21rocsparse_index_base_imNS_24const_host_device_scalarIfEENS8_IdEENS8_IS4_EEb,"axG",@progbits,_ZN9rocsparseL15bsrilu0_generalILj128ELj64ELb1EfEEv20rocsparse_direction_iPKiS3_PT2_S3_iPiS3_S6_21rocsparse_index_base_imNS_24const_host_device_scalarIfEENS8_IdEENS8_IS4_EEb,comdat
.Lfunc_end0:
	.size	_ZN9rocsparseL15bsrilu0_generalILj128ELj64ELb1EfEEv20rocsparse_direction_iPKiS3_PT2_S3_iPiS3_S6_21rocsparse_index_base_imNS_24const_host_device_scalarIfEENS8_IdEENS8_IS4_EEb, .Lfunc_end0-_ZN9rocsparseL15bsrilu0_generalILj128ELj64ELb1EfEEv20rocsparse_direction_iPKiS3_PT2_S3_iPiS3_S6_21rocsparse_index_base_imNS_24const_host_device_scalarIfEENS8_IdEENS8_IS4_EEb
                                        ; -- End function
	.section	.AMDGPU.csdata,"",@progbits
; Kernel info:
; codeLenInByte = 4364
; NumSgprs: 46
; NumVgprs: 34
; ScratchSize: 0
; MemoryBound: 0
; FloatMode: 240
; IeeeMode: 1
; LDSByteSize: 0 bytes/workgroup (compile time only)
; SGPRBlocks: 5
; VGPRBlocks: 4
; NumSGPRsForWavesPerEU: 46
; NumVGPRsForWavesPerEU: 34
; Occupancy: 16
; WaveLimiterHint : 1
; COMPUTE_PGM_RSRC2:SCRATCH_EN: 0
; COMPUTE_PGM_RSRC2:USER_SGPR: 15
; COMPUTE_PGM_RSRC2:TRAP_HANDLER: 0
; COMPUTE_PGM_RSRC2:TGID_X_EN: 1
; COMPUTE_PGM_RSRC2:TGID_Y_EN: 0
; COMPUTE_PGM_RSRC2:TGID_Z_EN: 0
; COMPUTE_PGM_RSRC2:TIDIG_COMP_CNT: 0
	.section	.text._ZN9rocsparseL15bsrilu0_generalILj128ELj32ELb0EfEEv20rocsparse_direction_iPKiS3_PT2_S3_iPiS3_S6_21rocsparse_index_base_imNS_24const_host_device_scalarIfEENS8_IdEENS8_IS4_EEb,"axG",@progbits,_ZN9rocsparseL15bsrilu0_generalILj128ELj32ELb0EfEEv20rocsparse_direction_iPKiS3_PT2_S3_iPiS3_S6_21rocsparse_index_base_imNS_24const_host_device_scalarIfEENS8_IdEENS8_IS4_EEb,comdat
	.globl	_ZN9rocsparseL15bsrilu0_generalILj128ELj32ELb0EfEEv20rocsparse_direction_iPKiS3_PT2_S3_iPiS3_S6_21rocsparse_index_base_imNS_24const_host_device_scalarIfEENS8_IdEENS8_IS4_EEb ; -- Begin function _ZN9rocsparseL15bsrilu0_generalILj128ELj32ELb0EfEEv20rocsparse_direction_iPKiS3_PT2_S3_iPiS3_S6_21rocsparse_index_base_imNS_24const_host_device_scalarIfEENS8_IdEENS8_IS4_EEb
	.p2align	8
	.type	_ZN9rocsparseL15bsrilu0_generalILj128ELj32ELb0EfEEv20rocsparse_direction_iPKiS3_PT2_S3_iPiS3_S6_21rocsparse_index_base_imNS_24const_host_device_scalarIfEENS8_IdEENS8_IS4_EEb,@function
_ZN9rocsparseL15bsrilu0_generalILj128ELj32ELb0EfEEv20rocsparse_direction_iPKiS3_PT2_S3_iPiS3_S6_21rocsparse_index_base_imNS_24const_host_device_scalarIfEENS8_IdEENS8_IS4_EEb: ; @_ZN9rocsparseL15bsrilu0_generalILj128ELj32ELb0EfEEv20rocsparse_direction_iPKiS3_PT2_S3_iPiS3_S6_21rocsparse_index_base_imNS_24const_host_device_scalarIfEENS8_IdEENS8_IS4_EEb
; %bb.0:
	s_clause 0x2
	s_load_b32 s2, s[0:1], 0x70
	s_load_b64 s[24:25], s[0:1], 0x48
	s_load_b256 s[16:23], s[0:1], 0x50
	s_waitcnt lgkmcnt(0)
	s_bitcmp1_b32 s2, 0
	s_cselect_b32 s5, -1, 0
	s_cmp_lg_u32 s25, 0
	s_cselect_b32 s26, -1, 0
	s_cmp_eq_u32 s25, 0
	s_cselect_b32 s4, -1, 0
	s_delay_alu instid0(SALU_CYCLE_1) | instskip(SKIP_3) | instid1(SALU_CYCLE_1)
	s_and_b32 s2, s4, exec_lo
	s_cselect_b32 s2, 0, s20
	s_cselect_b32 s3, 0, s21
	s_or_b32 s5, s4, s5
	s_and_b32 vcc_lo, exec_lo, s5
	s_xor_b32 s5, s5, -1
	s_cbranch_vccnz .LBB1_2
; %bb.1:
	s_load_b32 s2, s[18:19], 0x0
	s_waitcnt lgkmcnt(0)
	v_mov_b32_e32 v18, s2
	s_mov_b64 s[2:3], s[20:21]
	s_branch .LBB1_3
.LBB1_2:
	v_cndmask_b32_e64 v18, s18, 0, s4
.LBB1_3:
	v_cndmask_b32_e64 v1, 0, 1, s5
	v_dual_mov_b32 v7, s3 :: v_dual_mov_b32 v6, s2
	s_and_not1_b32 vcc_lo, exec_lo, s5
	s_cbranch_vccnz .LBB1_5
; %bb.4:
	v_dual_mov_b32 v2, s20 :: v_dual_mov_b32 v3, s21
	flat_load_b64 v[6:7], v[2:3]
.LBB1_5:
	s_delay_alu instid0(VALU_DEP_2)
	v_cmp_ne_u32_e32 vcc_lo, 1, v1
	s_cbranch_vccnz .LBB1_7
; %bb.6:
	s_load_b32 s2, s[22:23], 0x0
	s_waitcnt lgkmcnt(0)
	v_mov_b32_e32 v17, s2
	s_branch .LBB1_8
.LBB1_7:
	v_cndmask_b32_e64 v17, s22, 0, s4
.LBB1_8:
	s_load_b64 s[20:21], s[0:1], 0x0
	v_lshrrev_b32_e32 v1, 5, v0
	s_lshl_b32 s2, s15, 2
	s_delay_alu instid0(VALU_DEP_1) | instid1(SALU_CYCLE_1)
	v_and_or_b32 v1, 0x7fffffc, s2, v1
	s_mov_b32 s2, exec_lo
	s_waitcnt lgkmcnt(0)
	s_delay_alu instid0(VALU_DEP_1)
	v_cmpx_gt_i32_e64 s21, v1
	s_cbranch_execz .LBB1_153
; %bb.9:
	s_clause 0x1
	s_load_b128 s[12:15], s[0:1], 0x30
	s_load_b64 s[18:19], s[0:1], 0x40
	v_lshlrev_b32_e32 v1, 2, v1
	s_load_b256 s[4:11], s[0:1], 0x8
	v_and_b32_e32 v0, 31, v0
	s_mov_b32 s2, -1
	s_waitcnt lgkmcnt(0)
	global_load_b32 v1, v1, s[14:15]
	s_mov_b32 s15, exec_lo
	s_waitcnt vmcnt(0)
	v_ashrrev_i32_e32 v2, 31, v1
	s_delay_alu instid0(VALU_DEP_1) | instskip(NEXT) | instid1(VALU_DEP_1)
	v_lshlrev_b64 v[2:3], 2, v[1:2]
	v_add_co_u32 v4, vcc_lo, s10, v2
	s_delay_alu instid0(VALU_DEP_2)
	v_add_co_ci_u32_e32 v5, vcc_lo, s11, v3, vcc_lo
	global_load_b32 v4, v[4:5], off
	s_waitcnt vmcnt(0)
	v_cmpx_ne_u32_e32 -1, v4
	s_cbranch_execz .LBB1_147
; %bb.10:
	v_add_co_u32 v8, vcc_lo, s4, v2
	v_add_co_ci_u32_e32 v9, vcc_lo, s5, v3, vcc_lo
	s_load_b32 s14, s[0:1], 0x28
	s_mov_b32 s3, 0
	s_mov_b32 s22, exec_lo
	global_load_b64 v[8:9], v[8:9], off
	s_waitcnt vmcnt(0)
	v_subrev_nc_u32_e32 v8, s24, v8
	v_subrev_nc_u32_e32 v16, s24, v9
	s_delay_alu instid0(VALU_DEP_2)
	v_cmpx_lt_i32_e64 v8, v4
	s_cbranch_execz .LBB1_82
; %bb.11:
	v_add_nc_u32_e32 v10, v8, v0
	s_waitcnt lgkmcnt(0)
	v_mad_u64_u32 v[13:14], null, s14, v8, v[0:1]
	s_cmp_gt_i32 s14, 0
	v_cmp_gt_i32_e64 s0, s14, v0
	v_ashrrev_i32_e32 v11, 31, v10
	s_cselect_b32 s23, -1, 0
	s_cmp_lg_u32 s20, 0
	v_cmp_le_i32_e64 s1, s14, v0
	s_delay_alu instid0(VALU_DEP_4)
	v_mul_lo_u32 v19, s14, v13
	v_lshlrev_b64 v[11:12], 2, v[10:11]
	s_cselect_b32 s27, -1, 0
	s_add_i32 s21, s21, 1
	v_cmp_lt_i32_e64 s2, v10, v16
	s_add_u32 s28, s4, 4
	s_addc_u32 s29, s5, 0
	v_add_co_u32 v11, vcc_lo, s6, v11
	v_add_co_ci_u32_e32 v12, vcc_lo, s7, v12, vcc_lo
	s_add_u32 s30, s6, 0x80
	s_mov_b32 s25, 0
	s_addc_u32 s31, s7, 0
	s_mul_i32 s33, s14, s14
	s_lshl_b32 s34, s14, 5
	s_mov_b32 s35, 0
                                        ; implicit-def: $sgpr36
                                        ; implicit-def: $sgpr37
	s_branch .LBB1_14
.LBB1_12:                               ;   in Loop: Header=BB1_14 Depth=1
	s_or_b32 exec_lo, exec_lo, s4
	s_delay_alu instid0(SALU_CYCLE_1) | instskip(SKIP_1) | instid1(SALU_CYCLE_1)
	s_and_not1_b32 s4, s37, exec_lo
	s_and_b32 s5, s25, exec_lo
	s_or_b32 s37, s4, s5
.LBB1_13:                               ;   in Loop: Header=BB1_14 Depth=1
	s_or_b32 exec_lo, exec_lo, s38
	v_add_nc_u32_e32 v8, 1, v8
	s_xor_b32 s3, s3, -1
	v_add_nc_u32_e32 v19, s33, v19
	s_mov_b32 s25, s37
	s_delay_alu instid0(VALU_DEP_2) | instskip(SKIP_1) | instid1(SALU_CYCLE_1)
	v_cmp_ge_i32_e32 vcc_lo, v8, v4
	s_or_b32 s3, s3, vcc_lo
	s_and_b32 s3, exec_lo, s3
	s_delay_alu instid0(SALU_CYCLE_1) | instskip(SKIP_2) | instid1(SALU_CYCLE_1)
	s_or_b32 s35, s3, s35
	s_and_not1_b32 s3, s36, exec_lo
	s_and_b32 s4, s37, exec_lo
	s_or_b32 s36, s3, s4
	s_and_not1_b32 exec_lo, exec_lo, s35
	s_cbranch_execz .LBB1_81
.LBB1_14:                               ; =>This Loop Header: Depth=1
                                        ;     Child Loop BB1_17 Depth 2
                                        ;     Child Loop BB1_22 Depth 2
                                        ;       Child Loop BB1_27 Depth 3
                                        ;         Child Loop BB1_37 Depth 4
                                        ;     Child Loop BB1_55 Depth 2
                                        ;       Child Loop BB1_60 Depth 3
                                        ;       Child Loop BB1_67 Depth 3
                                        ;         Child Loop BB1_70 Depth 4
                                        ;           Child Loop BB1_72 Depth 5
	v_ashrrev_i32_e32 v9, 31, v8
	s_or_b32 s37, s37, exec_lo
	s_delay_alu instid0(VALU_DEP_1) | instskip(NEXT) | instid1(VALU_DEP_1)
	v_lshlrev_b64 v[13:14], 2, v[8:9]
	v_add_co_u32 v13, vcc_lo, s6, v13
	s_delay_alu instid0(VALU_DEP_2) | instskip(SKIP_4) | instid1(VALU_DEP_1)
	v_add_co_ci_u32_e32 v14, vcc_lo, s7, v14, vcc_lo
	s_waitcnt lgkmcnt(0)
	global_load_b32 v5, v[13:14], off
	s_waitcnt vmcnt(0)
	v_subrev_nc_u32_e32 v13, s24, v5
	v_ashrrev_i32_e32 v14, 31, v13
	s_delay_alu instid0(VALU_DEP_1) | instskip(NEXT) | instid1(VALU_DEP_1)
	v_lshlrev_b64 v[13:14], 2, v[13:14]
	v_add_co_u32 v20, vcc_lo, s10, v13
	s_delay_alu instid0(VALU_DEP_2) | instskip(SKIP_3) | instid1(VALU_DEP_1)
	v_add_co_ci_u32_e32 v21, vcc_lo, s11, v14, vcc_lo
	global_load_b32 v21, v[20:21], off
	s_waitcnt vmcnt(0)
	v_cmp_ne_u32_e64 s3, -1, v21
	s_and_saveexec_b32 s38, s3
	s_cbranch_execz .LBB1_13
; %bb.15:                               ;   in Loop: Header=BB1_14 Depth=1
	v_add_co_u32 v22, vcc_lo, s28, v13
	v_add_co_ci_u32_e32 v23, vcc_lo, s29, v14, vcc_lo
	v_add_co_u32 v13, vcc_lo, s12, v13
	v_add_co_ci_u32_e32 v14, vcc_lo, s13, v14, vcc_lo
	s_mov_b32 s4, exec_lo
	global_load_b32 v22, v[22:23], off
	global_load_b32 v5, v[13:14], off glc
	s_waitcnt vmcnt(0)
	v_cmpx_eq_u32_e32 0, v5
	s_cbranch_execz .LBB1_18
; %bb.16:                               ;   in Loop: Header=BB1_14 Depth=1
	s_mov_b32 s5, 0
.LBB1_17:                               ;   Parent Loop BB1_14 Depth=1
                                        ; =>  This Inner Loop Header: Depth=2
	global_load_b32 v5, v[13:14], off glc
	s_waitcnt vmcnt(0)
	v_cmp_ne_u32_e32 vcc_lo, 0, v5
	s_or_b32 s5, vcc_lo, s5
	s_delay_alu instid0(SALU_CYCLE_1)
	s_and_not1_b32 exec_lo, exec_lo, s5
	s_cbranch_execnz .LBB1_17
.LBB1_18:                               ;   in Loop: Header=BB1_14 Depth=1
	s_or_b32 exec_lo, exec_lo, s4
	v_mul_lo_u32 v20, v8, s14
	s_and_not1_b32 vcc_lo, exec_lo, s23
	buffer_gl1_inv
	buffer_gl0_inv
	s_cbranch_vccnz .LBB1_51
; %bb.19:                               ;   in Loop: Header=BB1_14 Depth=1
	v_mul_lo_u32 v23, v21, s14
	v_mov_b32_e32 v5, 0
	s_mov_b32 s39, 0
	s_branch .LBB1_22
.LBB1_20:                               ;   in Loop: Header=BB1_22 Depth=2
	s_or_b32 exec_lo, exec_lo, s41
	v_mov_b32_e32 v5, v24
.LBB1_21:                               ;   in Loop: Header=BB1_22 Depth=2
	s_or_b32 exec_lo, exec_lo, s40
	s_delay_alu instid0(VALU_DEP_1) | instskip(SKIP_1) | instid1(SALU_CYCLE_1)
	v_cmp_eq_u32_e32 vcc_lo, s14, v5
	s_or_b32 s39, vcc_lo, s39
	s_and_not1_b32 exec_lo, exec_lo, s39
	s_cbranch_execz .LBB1_50
.LBB1_22:                               ;   Parent Loop BB1_14 Depth=1
                                        ; =>  This Loop Header: Depth=2
                                        ;       Child Loop BB1_27 Depth 3
                                        ;         Child Loop BB1_37 Depth 4
	s_delay_alu instid0(VALU_DEP_1) | instskip(SKIP_1) | instid1(SALU_CYCLE_1)
	v_add_nc_u32_e32 v24, 1, v5
	s_and_saveexec_b32 s4, s1
	s_xor_b32 s4, exec_lo, s4
; %bb.23:                               ;   in Loop: Header=BB1_22 Depth=2
	v_add_nc_u32_e32 v5, 1, v5
                                        ; implicit-def: $vgpr24
; %bb.24:                               ;   in Loop: Header=BB1_22 Depth=2
	s_and_not1_saveexec_b32 s40, s4
	s_cbranch_execz .LBB1_21
; %bb.25:                               ;   in Loop: Header=BB1_22 Depth=2
	s_delay_alu instid0(VALU_DEP_1) | instskip(SKIP_2) | instid1(VALU_DEP_2)
	v_dual_mov_b32 v28, v19 :: v_dual_add_nc_u32 v9, v5, v23
	v_cmp_gt_i32_e64 s4, s14, v24
	s_mov_b32 s41, 0
	v_mul_lo_u32 v25, v9, s14
	v_add_nc_u32_e32 v9, v5, v20
	s_delay_alu instid0(VALU_DEP_1) | instskip(SKIP_1) | instid1(VALU_DEP_4)
	v_mul_lo_u32 v27, v9, s14
	v_mov_b32_e32 v9, v0
	v_add_nc_u32_e32 v13, v25, v5
	s_delay_alu instid0(VALU_DEP_1) | instskip(NEXT) | instid1(VALU_DEP_1)
	v_ashrrev_i32_e32 v14, 31, v13
	v_lshlrev_b64 v[13:14], 2, v[13:14]
	s_delay_alu instid0(VALU_DEP_1) | instskip(NEXT) | instid1(VALU_DEP_2)
	v_add_co_u32 v13, vcc_lo, s8, v13
	v_add_co_ci_u32_e32 v14, vcc_lo, s9, v14, vcc_lo
	global_load_b32 v26, v[13:14], off
	s_branch .LBB1_27
.LBB1_26:                               ;   in Loop: Header=BB1_27 Depth=3
	s_or_b32 exec_lo, exec_lo, s42
	v_add_nc_u32_e32 v9, 32, v9
	v_add_nc_u32_e32 v28, s34, v28
	s_delay_alu instid0(VALU_DEP_2) | instskip(SKIP_1) | instid1(SALU_CYCLE_1)
	v_cmp_le_i32_e32 vcc_lo, s14, v9
	s_or_b32 s41, vcc_lo, s41
	s_and_not1_b32 exec_lo, exec_lo, s41
	s_cbranch_execz .LBB1_20
.LBB1_27:                               ;   Parent Loop BB1_14 Depth=1
                                        ;     Parent Loop BB1_22 Depth=2
                                        ; =>    This Loop Header: Depth=3
                                        ;         Child Loop BB1_37 Depth 4
	v_add_nc_u32_e32 v13, v9, v27
	s_and_b32 vcc_lo, exec_lo, s27
	s_cbranch_vccz .LBB1_48
; %bb.28:                               ;   in Loop: Header=BB1_27 Depth=3
	v_add_nc_u32_e32 v14, v9, v27
	v_add_nc_u32_e32 v29, v9, v20
	s_cbranch_execnz .LBB1_30
.LBB1_29:                               ;   in Loop: Header=BB1_27 Depth=3
	s_delay_alu instid0(VALU_DEP_1)
	v_mad_u64_u32 v[14:15], null, v29, s14, v[5:6]
.LBB1_30:                               ;   in Loop: Header=BB1_27 Depth=3
	s_delay_alu instid0(VALU_DEP_1) | instskip(NEXT) | instid1(VALU_DEP_1)
	v_ashrrev_i32_e32 v15, 31, v14
	v_lshlrev_b64 v[14:15], 2, v[14:15]
	s_delay_alu instid0(VALU_DEP_1) | instskip(NEXT) | instid1(VALU_DEP_2)
	v_add_co_u32 v14, vcc_lo, s8, v14
	v_add_co_ci_u32_e32 v15, vcc_lo, s9, v15, vcc_lo
	s_and_b32 vcc_lo, exec_lo, s27
	global_load_b32 v15, v[14:15], off
	s_cbranch_vccz .LBB1_49
; %bb.31:                               ;   in Loop: Header=BB1_27 Depth=3
	s_cbranch_execnz .LBB1_33
.LBB1_32:                               ;   in Loop: Header=BB1_27 Depth=3
	v_mad_u64_u32 v[13:14], null, v29, s14, v[5:6]
.LBB1_33:                               ;   in Loop: Header=BB1_27 Depth=3
	s_waitcnt vmcnt(0)
	v_div_scale_f32 v14, null, v26, v26, v15
	v_div_scale_f32 v31, vcc_lo, v15, v26, v15
	s_delay_alu instid0(VALU_DEP_2) | instskip(SKIP_2) | instid1(VALU_DEP_1)
	v_rcp_f32_e32 v29, v14
	s_waitcnt_depctr 0xfff
	v_fma_f32 v30, -v14, v29, 1.0
	v_fmac_f32_e32 v29, v30, v29
	s_delay_alu instid0(VALU_DEP_1) | instskip(NEXT) | instid1(VALU_DEP_1)
	v_mul_f32_e32 v30, v31, v29
	v_fma_f32 v32, -v14, v30, v31
	s_delay_alu instid0(VALU_DEP_1) | instskip(NEXT) | instid1(VALU_DEP_1)
	v_fmac_f32_e32 v30, v32, v29
	v_fma_f32 v31, -v14, v30, v31
	v_ashrrev_i32_e32 v14, 31, v13
	s_delay_alu instid0(VALU_DEP_2) | instskip(NEXT) | instid1(VALU_DEP_2)
	v_div_fmas_f32 v29, v31, v29, v30
	v_lshlrev_b64 v[13:14], 2, v[13:14]
	s_delay_alu instid0(VALU_DEP_2) | instskip(NEXT) | instid1(VALU_DEP_2)
	v_div_fixup_f32 v15, v29, v26, v15
	v_add_co_u32 v13, vcc_lo, s8, v13
	s_delay_alu instid0(VALU_DEP_3)
	v_add_co_ci_u32_e32 v14, vcc_lo, s9, v14, vcc_lo
	global_store_b32 v[13:14], v15, off
	s_and_saveexec_b32 s42, s4
	s_cbranch_execz .LBB1_26
; %bb.34:                               ;   in Loop: Header=BB1_27 Depth=3
	v_mov_b32_e32 v29, v24
	s_mov_b32 s43, 0
	s_branch .LBB1_37
.LBB1_35:                               ;   in Loop: Header=BB1_37 Depth=4
	v_mov_b32_e32 v13, v32
.LBB1_36:                               ;   in Loop: Header=BB1_37 Depth=4
	s_delay_alu instid0(VALU_DEP_1) | instskip(SKIP_3) | instid1(VALU_DEP_3)
	v_ashrrev_i32_e32 v14, 31, v13
	v_add_nc_u32_e32 v29, 1, v29
	s_waitcnt vmcnt(0)
	v_fma_f32 v30, -v15, v30, v33
	v_lshlrev_b64 v[13:14], 2, v[13:14]
	s_delay_alu instid0(VALU_DEP_3) | instskip(SKIP_1) | instid1(VALU_DEP_2)
	v_cmp_le_i32_e32 vcc_lo, s14, v29
	s_or_b32 s43, vcc_lo, s43
	v_add_co_u32 v13, s5, s8, v13
	s_delay_alu instid0(VALU_DEP_1)
	v_add_co_ci_u32_e64 v14, s5, s9, v14, s5
	global_store_b32 v[13:14], v30, off
	s_and_not1_b32 exec_lo, exec_lo, s43
	s_cbranch_execz .LBB1_26
.LBB1_37:                               ;   Parent Loop BB1_14 Depth=1
                                        ;     Parent Loop BB1_22 Depth=2
                                        ;       Parent Loop BB1_27 Depth=3
                                        ; =>      This Inner Loop Header: Depth=4
	s_and_b32 vcc_lo, exec_lo, s27
	s_cbranch_vccz .LBB1_45
; %bb.38:                               ;   in Loop: Header=BB1_37 Depth=4
	v_add_nc_u32_e32 v30, v29, v23
	s_delay_alu instid0(VALU_DEP_1)
	v_mad_u64_u32 v[13:14], null, v30, s14, v[5:6]
	s_cbranch_execnz .LBB1_40
.LBB1_39:                               ;   in Loop: Header=BB1_37 Depth=4
	v_add_nc_u32_e32 v13, v25, v29
.LBB1_40:                               ;   in Loop: Header=BB1_37 Depth=4
	s_delay_alu instid0(VALU_DEP_1) | instskip(SKIP_1) | instid1(VALU_DEP_2)
	v_ashrrev_i32_e32 v14, 31, v13
	v_add_nc_u32_e32 v31, v29, v20
	v_lshlrev_b64 v[13:14], 2, v[13:14]
	s_delay_alu instid0(VALU_DEP_1) | instskip(NEXT) | instid1(VALU_DEP_2)
	v_add_co_u32 v13, vcc_lo, s8, v13
	v_add_co_ci_u32_e32 v14, vcc_lo, s9, v14, vcc_lo
	s_and_b32 vcc_lo, exec_lo, s27
	global_load_b32 v30, v[13:14], off
	s_cbranch_vccz .LBB1_46
; %bb.41:                               ;   in Loop: Header=BB1_37 Depth=4
	v_mad_u64_u32 v[13:14], null, v31, s14, v[9:10]
	v_add_nc_u32_e32 v32, v28, v29
	s_cbranch_execnz .LBB1_43
.LBB1_42:                               ;   in Loop: Header=BB1_37 Depth=4
	v_add_nc_u32_e32 v13, v28, v29
.LBB1_43:                               ;   in Loop: Header=BB1_37 Depth=4
	s_delay_alu instid0(VALU_DEP_1) | instskip(NEXT) | instid1(VALU_DEP_1)
	v_ashrrev_i32_e32 v14, 31, v13
	v_lshlrev_b64 v[13:14], 2, v[13:14]
	s_delay_alu instid0(VALU_DEP_1) | instskip(NEXT) | instid1(VALU_DEP_2)
	v_add_co_u32 v13, vcc_lo, s8, v13
	v_add_co_ci_u32_e32 v14, vcc_lo, s9, v14, vcc_lo
	s_and_b32 vcc_lo, exec_lo, s27
	global_load_b32 v33, v[13:14], off
	s_cbranch_vccz .LBB1_47
; %bb.44:                               ;   in Loop: Header=BB1_37 Depth=4
	v_mad_u64_u32 v[13:14], null, v31, s14, v[9:10]
	s_cbranch_execnz .LBB1_36
	s_branch .LBB1_35
.LBB1_45:                               ;   in Loop: Header=BB1_37 Depth=4
                                        ; implicit-def: $vgpr13
	s_branch .LBB1_39
.LBB1_46:                               ;   in Loop: Header=BB1_37 Depth=4
                                        ; implicit-def: $vgpr13
	v_add_nc_u32_e32 v32, v28, v29
	s_branch .LBB1_42
.LBB1_47:                               ;   in Loop: Header=BB1_37 Depth=4
                                        ; implicit-def: $vgpr13
	s_branch .LBB1_35
.LBB1_48:                               ;   in Loop: Header=BB1_27 Depth=3
                                        ; implicit-def: $vgpr14
	v_add_nc_u32_e32 v29, v9, v20
	s_branch .LBB1_29
.LBB1_49:                               ;   in Loop: Header=BB1_27 Depth=3
                                        ; implicit-def: $vgpr13
	s_branch .LBB1_32
.LBB1_50:                               ;   in Loop: Header=BB1_14 Depth=1
	s_or_b32 exec_lo, exec_lo, s39
.LBB1_51:                               ;   in Loop: Header=BB1_14 Depth=1
	v_subrev_nc_u32_e32 v9, s24, v22
	v_add_nc_u32_e32 v13, 1, v21
	s_mov_b32 s4, exec_lo
	s_delay_alu instid0(VALU_DEP_1)
	v_cmpx_lt_i32_e64 v13, v9
	s_cbranch_execz .LBB1_12
; %bb.52:                               ;   in Loop: Header=BB1_14 Depth=1
	v_mul_lo_u32 v21, s33, v13
	s_mov_b32 s5, 0
	s_branch .LBB1_55
.LBB1_53:                               ;   in Loop: Header=BB1_55 Depth=2
	s_or_b32 exec_lo, exec_lo, s39
.LBB1_54:                               ;   in Loop: Header=BB1_55 Depth=2
	v_add_nc_u32_e32 v13, 1, v13
	v_add_nc_u32_e32 v21, s33, v21
	s_delay_alu instid0(VALU_DEP_2) | instskip(SKIP_1) | instid1(SALU_CYCLE_1)
	v_cmp_ge_i32_e32 vcc_lo, v13, v9
	s_or_b32 s5, vcc_lo, s5
	s_and_not1_b32 exec_lo, exec_lo, s5
	s_cbranch_execz .LBB1_12
.LBB1_55:                               ;   Parent Loop BB1_14 Depth=1
                                        ; =>  This Loop Header: Depth=2
                                        ;       Child Loop BB1_60 Depth 3
                                        ;       Child Loop BB1_67 Depth 3
                                        ;         Child Loop BB1_70 Depth 4
                                        ;           Child Loop BB1_72 Depth 5
	v_ashrrev_i32_e32 v14, 31, v13
	s_delay_alu instid0(VALU_DEP_1) | instskip(NEXT) | instid1(VALU_DEP_1)
	v_lshlrev_b64 v[14:15], 2, v[13:14]
	v_add_co_u32 v14, vcc_lo, s6, v14
	s_delay_alu instid0(VALU_DEP_2)
	v_add_co_ci_u32_e32 v15, vcc_lo, s7, v15, vcc_lo
	s_waitcnt lgkmcnt(0)
	global_load_b32 v5, v[14:15], off
	v_mov_b32_e32 v15, s21
	s_and_saveexec_b32 s39, s2
	s_cbranch_execz .LBB1_57
; %bb.56:                               ;   in Loop: Header=BB1_55 Depth=2
	global_load_b32 v14, v[11:12], off
	s_waitcnt vmcnt(0)
	v_subrev_nc_u32_e32 v15, s24, v14
.LBB1_57:                               ;   in Loop: Header=BB1_55 Depth=2
	s_or_b32 exec_lo, exec_lo, s39
	s_waitcnt vmcnt(0)
	v_subrev_nc_u32_e32 v5, s24, v5
	v_mov_b32_e32 v22, v10
	s_mov_b32 s39, exec_lo
	s_delay_alu instid0(VALU_DEP_2)
	v_cmpx_lt_i32_e64 v15, v5
	s_cbranch_execz .LBB1_63
; %bb.58:                               ;   in Loop: Header=BB1_55 Depth=2
	v_mov_b32_e32 v14, v10
	s_mov_b32 s40, 0
	s_branch .LBB1_60
	.p2align	6
.LBB1_59:                               ;   in Loop: Header=BB1_60 Depth=3
	s_or_b32 exec_lo, exec_lo, s41
	s_delay_alu instid0(VALU_DEP_1) | instskip(SKIP_2) | instid1(SALU_CYCLE_1)
	v_cmp_ge_i32_e32 vcc_lo, v15, v5
	v_mov_b32_e32 v14, v22
	s_or_b32 s40, vcc_lo, s40
	s_and_not1_b32 exec_lo, exec_lo, s40
	s_cbranch_execz .LBB1_62
.LBB1_60:                               ;   Parent Loop BB1_14 Depth=1
                                        ;     Parent Loop BB1_55 Depth=2
                                        ; =>    This Inner Loop Header: Depth=3
	s_delay_alu instid0(VALU_DEP_1) | instskip(SKIP_1) | instid1(VALU_DEP_1)
	v_dual_mov_b32 v15, s21 :: v_dual_add_nc_u32 v22, 32, v14
	s_mov_b32 s41, exec_lo
	v_cmpx_lt_i32_e64 v22, v16
	s_cbranch_execz .LBB1_59
; %bb.61:                               ;   in Loop: Header=BB1_60 Depth=3
	v_ashrrev_i32_e32 v15, 31, v14
	s_delay_alu instid0(VALU_DEP_1) | instskip(NEXT) | instid1(VALU_DEP_1)
	v_lshlrev_b64 v[14:15], 2, v[14:15]
	v_add_co_u32 v14, vcc_lo, s30, v14
	s_delay_alu instid0(VALU_DEP_2)
	v_add_co_ci_u32_e32 v15, vcc_lo, s31, v15, vcc_lo
	global_load_b32 v14, v[14:15], off
	s_waitcnt vmcnt(0)
	v_subrev_nc_u32_e32 v15, s24, v14
	s_branch .LBB1_59
.LBB1_62:                               ;   in Loop: Header=BB1_55 Depth=2
	s_or_b32 exec_lo, exec_lo, s40
.LBB1_63:                               ;   in Loop: Header=BB1_55 Depth=2
	s_delay_alu instid0(SALU_CYCLE_1)
	s_or_b32 exec_lo, exec_lo, s39
	v_cmp_eq_u32_e32 vcc_lo, v15, v5
	s_cbranch_vccz .LBB1_54
; %bb.64:                               ;   in Loop: Header=BB1_55 Depth=2
	s_ctz_i32_b32 s39, vcc_lo
	s_delay_alu instid0(SALU_CYCLE_1) | instskip(NEXT) | instid1(SALU_CYCLE_1)
	s_lshl_b32 s39, s39, 2
	v_mov_b32_e32 v5, s39
	ds_bpermute_b32 v5, v5, v22
	s_and_saveexec_b32 s39, s0
	s_cbranch_execz .LBB1_53
; %bb.65:                               ;   in Loop: Header=BB1_55 Depth=2
	v_mul_lo_u32 v22, v13, s14
	s_waitcnt lgkmcnt(0)
	v_mul_lo_u32 v23, v5, s14
	v_dual_mov_b32 v24, v19 :: v_dual_mov_b32 v5, v0
	s_mov_b32 s40, 0
	s_branch .LBB1_67
.LBB1_66:                               ;   in Loop: Header=BB1_67 Depth=3
	v_add_nc_u32_e32 v5, 32, v5
	v_add_nc_u32_e32 v24, s34, v24
	s_delay_alu instid0(VALU_DEP_2) | instskip(SKIP_1) | instid1(SALU_CYCLE_1)
	v_cmp_le_i32_e32 vcc_lo, s14, v5
	s_or_b32 s40, vcc_lo, s40
	s_and_not1_b32 exec_lo, exec_lo, s40
	s_cbranch_execz .LBB1_53
.LBB1_67:                               ;   Parent Loop BB1_14 Depth=1
                                        ;     Parent Loop BB1_55 Depth=2
                                        ; =>    This Loop Header: Depth=3
                                        ;         Child Loop BB1_70 Depth 4
                                        ;           Child Loop BB1_72 Depth 5
	s_delay_alu instid0(VALU_DEP_1) | instskip(SKIP_2) | instid1(VALU_DEP_2)
	v_add_nc_u32_e32 v14, v5, v23
	v_mov_b32_e32 v26, v21
	s_mov_b32 s41, 0
	v_mul_lo_u32 v25, v14, s14
	s_branch .LBB1_70
.LBB1_68:                               ;   in Loop: Header=BB1_70 Depth=4
	v_add_nc_u32_e32 v14, s41, v25
.LBB1_69:                               ;   in Loop: Header=BB1_70 Depth=4
	s_delay_alu instid0(VALU_DEP_1) | instskip(SKIP_3) | instid1(VALU_DEP_2)
	v_ashrrev_i32_e32 v15, 31, v14
	s_add_i32 s41, s41, 1
	v_add_nc_u32_e32 v26, 1, v26
	s_cmp_eq_u32 s41, s14
	v_lshlrev_b64 v[14:15], 2, v[14:15]
	s_delay_alu instid0(VALU_DEP_1) | instskip(NEXT) | instid1(VALU_DEP_2)
	v_add_co_u32 v14, vcc_lo, s8, v14
	v_add_co_ci_u32_e32 v15, vcc_lo, s9, v15, vcc_lo
	global_load_b32 v28, v[14:15], off
	s_waitcnt vmcnt(0)
	v_sub_f32_e32 v27, v28, v27
	global_store_b32 v[14:15], v27, off
	s_cbranch_scc1 .LBB1_66
.LBB1_70:                               ;   Parent Loop BB1_14 Depth=1
                                        ;     Parent Loop BB1_55 Depth=2
                                        ;       Parent Loop BB1_67 Depth=3
                                        ; =>      This Loop Header: Depth=4
                                        ;           Child Loop BB1_72 Depth 5
	v_dual_mov_b32 v27, 0 :: v_dual_add_nc_u32 v14, s41, v22
	v_mov_b32_e32 v29, v26
	s_mov_b32 s42, 0
	s_delay_alu instid0(VALU_DEP_2)
	v_mul_lo_u32 v28, v14, s14
	s_set_inst_prefetch_distance 0x1
	s_branch .LBB1_72
	.p2align	6
.LBB1_71:                               ;   in Loop: Header=BB1_72 Depth=5
	s_delay_alu instid0(VALU_DEP_1) | instskip(SKIP_2) | instid1(SALU_CYCLE_1)
	v_ashrrev_i32_e32 v15, 31, v14
	v_add_nc_u32_e32 v29, s14, v29
	s_add_i32 s42, s42, 1
	s_cmp_eq_u32 s14, s42
	s_delay_alu instid0(VALU_DEP_2) | instskip(NEXT) | instid1(VALU_DEP_1)
	v_lshlrev_b64 v[14:15], 2, v[14:15]
	v_add_co_u32 v14, vcc_lo, s8, v14
	s_delay_alu instid0(VALU_DEP_2)
	v_add_co_ci_u32_e32 v15, vcc_lo, s9, v15, vcc_lo
	global_load_b32 v14, v[14:15], off
	s_waitcnt vmcnt(0)
	v_fmac_f32_e32 v27, v30, v14
	s_cbranch_scc1 .LBB1_78
.LBB1_72:                               ;   Parent Loop BB1_14 Depth=1
                                        ;     Parent Loop BB1_55 Depth=2
                                        ;       Parent Loop BB1_67 Depth=3
                                        ;         Parent Loop BB1_70 Depth=4
                                        ; =>        This Inner Loop Header: Depth=5
	s_and_b32 vcc_lo, exec_lo, s27
	s_cbranch_vccz .LBB1_77
; %bb.73:                               ;   in Loop: Header=BB1_72 Depth=5
	v_add_nc_u32_e32 v30, s42, v20
	s_delay_alu instid0(VALU_DEP_1)
	v_mad_u64_u32 v[14:15], null, v30, s14, v[5:6]
	s_cbranch_execnz .LBB1_75
.LBB1_74:                               ;   in Loop: Header=BB1_72 Depth=5
	v_add_nc_u32_e32 v14, s42, v24
.LBB1_75:                               ;   in Loop: Header=BB1_72 Depth=5
	s_delay_alu instid0(VALU_DEP_1) | instskip(NEXT) | instid1(VALU_DEP_1)
	v_ashrrev_i32_e32 v15, 31, v14
	v_lshlrev_b64 v[14:15], 2, v[14:15]
	s_delay_alu instid0(VALU_DEP_1) | instskip(NEXT) | instid1(VALU_DEP_2)
	v_add_co_u32 v14, vcc_lo, s8, v14
	v_add_co_ci_u32_e32 v15, vcc_lo, s9, v15, vcc_lo
	s_and_not1_b32 vcc_lo, exec_lo, s27
	global_load_b32 v30, v[14:15], off
	v_mov_b32_e32 v14, v29
	s_cbranch_vccnz .LBB1_71
; %bb.76:                               ;   in Loop: Header=BB1_72 Depth=5
	v_add_nc_u32_e32 v14, s42, v28
	s_branch .LBB1_71
	.p2align	6
.LBB1_77:                               ;   in Loop: Header=BB1_72 Depth=5
                                        ; implicit-def: $vgpr14
	s_branch .LBB1_74
.LBB1_78:                               ;   in Loop: Header=BB1_70 Depth=4
	s_set_inst_prefetch_distance 0x2
	s_and_b32 vcc_lo, exec_lo, s27
	s_cbranch_vccz .LBB1_80
; %bb.79:                               ;   in Loop: Header=BB1_70 Depth=4
	v_add_nc_u32_e32 v28, s41, v23
	s_delay_alu instid0(VALU_DEP_1)
	v_mad_u64_u32 v[14:15], null, v28, s14, v[5:6]
	s_cbranch_execnz .LBB1_69
	s_branch .LBB1_68
.LBB1_80:                               ;   in Loop: Header=BB1_70 Depth=4
                                        ; implicit-def: $vgpr14
	s_branch .LBB1_68
.LBB1_81:
	s_or_b32 exec_lo, exec_lo, s35
	s_delay_alu instid0(SALU_CYCLE_1)
	s_and_b32 s3, s36, exec_lo
.LBB1_82:
	s_or_b32 exec_lo, exec_lo, s22
	s_waitcnt lgkmcnt(0)
	v_ashrrev_i32_e32 v5, 31, v4
	s_cmp_gt_i32 s14, 0
	s_cselect_b32 s4, -1, 0
	s_delay_alu instid0(VALU_DEP_1) | instskip(NEXT) | instid1(VALU_DEP_1)
	v_lshlrev_b64 v[8:9], 2, v[4:5]
	v_add_co_u32 v8, vcc_lo, s6, v8
	s_delay_alu instid0(VALU_DEP_2) | instskip(SKIP_4) | instid1(VALU_DEP_1)
	v_add_co_ci_u32_e32 v9, vcc_lo, s7, v9, vcc_lo
	s_mov_b32 s6, 0
	global_load_b32 v5, v[8:9], off
	s_waitcnt vmcnt(0)
	v_subrev_nc_u32_e32 v5, s24, v5
	v_cmp_eq_u32_e32 vcc_lo, v5, v1
	s_and_b32 s0, s4, vcc_lo
	s_delay_alu instid0(SALU_CYCLE_1)
	s_and_saveexec_b32 s5, s0
	s_cbranch_execz .LBB1_122
; %bb.83:
	v_cvt_f64_f32_e32 v[8:9], v18
	v_mul_lo_u32 v12, v4, s14
	s_cmp_eq_u64 s[16:17], 8
	v_cmp_eq_u32_e64 s0, 0, v0
	s_cselect_b32 vcc_lo, -1, 0
	v_mov_b32_e32 v5, 0
	s_cmp_lg_u32 s20, 0
	s_mov_b32 s16, s3
	s_cselect_b32 s7, -1, 0
	v_add3_u32 v13, v12, v0, 1
	s_lshl_b32 s10, s14, 5
                                        ; implicit-def: $sgpr11
	v_dual_cndmask_b32 v6, v8, v6 :: v_dual_cndmask_b32 v7, v9, v7
	s_branch .LBB1_85
.LBB1_84:                               ;   in Loop: Header=BB1_85 Depth=1
	s_or_b32 exec_lo, exec_lo, s1
	s_delay_alu instid0(VALU_DEP_1) | instskip(SKIP_4) | instid1(SALU_CYCLE_1)
	v_cmp_eq_u32_e32 vcc_lo, s14, v18
	v_mov_b32_e32 v5, v18
	s_or_b32 s6, vcc_lo, s6
	s_and_not1_b32 s1, s11, exec_lo
	s_and_b32 s2, s16, exec_lo
	s_or_b32 s11, s1, s2
	s_and_not1_b32 exec_lo, exec_lo, s6
	s_cbranch_execz .LBB1_121
.LBB1_85:                               ; =>This Loop Header: Depth=1
                                        ;     Child Loop BB1_95 Depth 2
                                        ;       Child Loop BB1_105 Depth 3
	v_add_nc_u32_e32 v8, v5, v12
	s_mov_b32 s17, 0
	s_delay_alu instid0(VALU_DEP_1) | instskip(NEXT) | instid1(VALU_DEP_1)
	v_mul_lo_u32 v14, v8, s14
	v_add_nc_u32_e32 v8, v14, v5
	s_delay_alu instid0(VALU_DEP_1) | instskip(NEXT) | instid1(VALU_DEP_1)
	v_ashrrev_i32_e32 v9, 31, v8
	v_lshlrev_b64 v[8:9], 2, v[8:9]
	s_delay_alu instid0(VALU_DEP_1) | instskip(NEXT) | instid1(VALU_DEP_2)
	v_add_co_u32 v8, vcc_lo, s8, v8
	v_add_co_ci_u32_e32 v9, vcc_lo, s9, v9, vcc_lo
	s_and_not1_b32 vcc_lo, exec_lo, s26
	global_load_b32 v15, v[8:9], off
	s_cbranch_vccnz .LBB1_90
; %bb.86:                               ;   in Loop: Header=BB1_85 Depth=1
	s_waitcnt vmcnt(0)
	v_cmp_gt_f32_e32 vcc_lo, 0, v15
	v_cndmask_b32_e64 v10, v15, -v15, vcc_lo
	s_delay_alu instid0(VALU_DEP_1) | instskip(NEXT) | instid1(VALU_DEP_1)
	v_cvt_f64_f32_e32 v[10:11], v10
	v_cmp_ge_f64_e32 vcc_lo, v[6:7], v[10:11]
	v_cndmask_b32_e32 v10, v15, v17, vcc_lo
	s_and_saveexec_b32 s1, s0
	s_cbranch_execz .LBB1_88
; %bb.87:                               ;   in Loop: Header=BB1_85 Depth=1
	global_store_b32 v[8:9], v10, off
.LBB1_88:                               ;   in Loop: Header=BB1_85 Depth=1
	s_or_b32 exec_lo, exec_lo, s1
	s_mov_b32 s1, -1
	s_cbranch_execz .LBB1_91
; %bb.89:                               ;   in Loop: Header=BB1_85 Depth=1
	s_waitcnt vmcnt(0)
	v_mov_b32_e32 v15, v10
                                        ; implicit-def: $sgpr2
                                        ; implicit-def: $vgpr18
	s_and_saveexec_b32 s21, s1
	s_delay_alu instid0(SALU_CYCLE_1)
	s_xor_b32 s21, exec_lo, s21
	s_cbranch_execz .LBB1_119
	s_branch .LBB1_92
.LBB1_90:                               ;   in Loop: Header=BB1_85 Depth=1
	s_mov_b32 s1, 0
                                        ; implicit-def: $vgpr10
.LBB1_91:                               ;   in Loop: Header=BB1_85 Depth=1
	s_waitcnt vmcnt(0)
	v_cmp_neq_f32_e32 vcc_lo, 0, v15
	s_and_not1_b32 s1, s1, exec_lo
	s_mov_b32 s17, -1
	s_and_b32 s2, vcc_lo, exec_lo
	s_delay_alu instid0(SALU_CYCLE_1) | instskip(NEXT) | instid1(SALU_CYCLE_1)
	s_or_b32 s1, s1, s2
                                        ; implicit-def: $sgpr2
                                        ; implicit-def: $vgpr18
	s_and_saveexec_b32 s21, s1
	s_delay_alu instid0(SALU_CYCLE_1)
	s_xor_b32 s21, exec_lo, s21
	s_cbranch_execz .LBB1_119
.LBB1_92:                               ;   in Loop: Header=BB1_85 Depth=1
	v_add_nc_u32_e32 v18, 1, v5
	s_mov_b32 s22, exec_lo
	s_delay_alu instid0(VALU_DEP_1) | instskip(NEXT) | instid1(VALU_DEP_1)
	v_add_nc_u32_e32 v8, v18, v0
	v_cmpx_gt_i32_e64 s14, v8
	s_cbranch_execz .LBB1_118
; %bb.93:                               ;   in Loop: Header=BB1_85 Depth=1
	v_add_nc_u32_e32 v9, v13, v5
	v_cmp_gt_i32_e64 s1, s14, v18
	s_mov_b32 s23, 0
	s_delay_alu instid0(VALU_DEP_2)
	v_mul_lo_u32 v19, s14, v9
	s_branch .LBB1_95
.LBB1_94:                               ;   in Loop: Header=BB1_95 Depth=2
	s_or_b32 exec_lo, exec_lo, s25
	v_add_nc_u32_e32 v8, 32, v8
	v_add_nc_u32_e32 v19, s10, v19
	s_delay_alu instid0(VALU_DEP_2) | instskip(SKIP_1) | instid1(SALU_CYCLE_1)
	v_cmp_le_i32_e32 vcc_lo, s14, v8
	s_or_b32 s23, vcc_lo, s23
	s_and_not1_b32 exec_lo, exec_lo, s23
	s_cbranch_execz .LBB1_118
.LBB1_95:                               ;   Parent Loop BB1_85 Depth=1
                                        ; =>  This Loop Header: Depth=2
                                        ;       Child Loop BB1_105 Depth 3
	v_add_nc_u32_e32 v9, v8, v14
	s_and_b32 vcc_lo, exec_lo, s7
	s_cbranch_vccz .LBB1_116
; %bb.96:                               ;   in Loop: Header=BB1_95 Depth=2
	v_add_nc_u32_e32 v10, v8, v14
	s_cbranch_execnz .LBB1_98
.LBB1_97:                               ;   in Loop: Header=BB1_95 Depth=2
	v_add_nc_u32_e32 v20, v8, v12
	s_delay_alu instid0(VALU_DEP_1)
	v_mad_u64_u32 v[10:11], null, v20, s14, v[5:6]
.LBB1_98:                               ;   in Loop: Header=BB1_95 Depth=2
	s_delay_alu instid0(VALU_DEP_1) | instskip(NEXT) | instid1(VALU_DEP_1)
	v_ashrrev_i32_e32 v11, 31, v10
	v_lshlrev_b64 v[10:11], 2, v[10:11]
	s_delay_alu instid0(VALU_DEP_1) | instskip(NEXT) | instid1(VALU_DEP_2)
	v_add_co_u32 v10, vcc_lo, s8, v10
	v_add_co_ci_u32_e32 v11, vcc_lo, s9, v11, vcc_lo
	s_and_b32 vcc_lo, exec_lo, s7
	global_load_b32 v11, v[10:11], off
	s_cbranch_vccz .LBB1_117
; %bb.99:                               ;   in Loop: Header=BB1_95 Depth=2
	s_cbranch_execnz .LBB1_101
.LBB1_100:                              ;   in Loop: Header=BB1_95 Depth=2
	v_add_nc_u32_e32 v20, v8, v12
	s_delay_alu instid0(VALU_DEP_1)
	v_mad_u64_u32 v[9:10], null, v20, s14, v[5:6]
.LBB1_101:                              ;   in Loop: Header=BB1_95 Depth=2
	s_waitcnt vmcnt(0)
	v_div_scale_f32 v10, null, v15, v15, v11
	v_div_scale_f32 v22, vcc_lo, v11, v15, v11
	s_delay_alu instid0(VALU_DEP_2) | instskip(SKIP_2) | instid1(VALU_DEP_1)
	v_rcp_f32_e32 v20, v10
	s_waitcnt_depctr 0xfff
	v_fma_f32 v21, -v10, v20, 1.0
	v_fmac_f32_e32 v20, v21, v20
	s_delay_alu instid0(VALU_DEP_1) | instskip(NEXT) | instid1(VALU_DEP_1)
	v_mul_f32_e32 v21, v22, v20
	v_fma_f32 v23, -v10, v21, v22
	s_delay_alu instid0(VALU_DEP_1) | instskip(NEXT) | instid1(VALU_DEP_1)
	v_fmac_f32_e32 v21, v23, v20
	v_fma_f32 v22, -v10, v21, v22
	v_ashrrev_i32_e32 v10, 31, v9
	s_delay_alu instid0(VALU_DEP_2) | instskip(NEXT) | instid1(VALU_DEP_2)
	v_div_fmas_f32 v20, v22, v20, v21
	v_lshlrev_b64 v[9:10], 2, v[9:10]
	s_delay_alu instid0(VALU_DEP_2) | instskip(NEXT) | instid1(VALU_DEP_2)
	v_div_fixup_f32 v11, v20, v15, v11
	v_add_co_u32 v9, vcc_lo, s8, v9
	s_delay_alu instid0(VALU_DEP_3)
	v_add_co_ci_u32_e32 v10, vcc_lo, s9, v10, vcc_lo
	global_store_b32 v[9:10], v11, off
	s_and_saveexec_b32 s25, s1
	s_cbranch_execz .LBB1_94
; %bb.102:                              ;   in Loop: Header=BB1_95 Depth=2
	v_mov_b32_e32 v20, v18
	s_mov_b32 s27, 0
	s_branch .LBB1_105
.LBB1_103:                              ;   in Loop: Header=BB1_105 Depth=3
	v_add_nc_u32_e32 v9, v19, v20
.LBB1_104:                              ;   in Loop: Header=BB1_105 Depth=3
	s_delay_alu instid0(VALU_DEP_1) | instskip(SKIP_3) | instid1(VALU_DEP_3)
	v_ashrrev_i32_e32 v10, 31, v9
	v_add_nc_u32_e32 v20, 1, v20
	s_waitcnt vmcnt(0)
	v_fma_f32 v21, -v11, v22, v23
	v_lshlrev_b64 v[9:10], 2, v[9:10]
	s_delay_alu instid0(VALU_DEP_3) | instskip(SKIP_1) | instid1(VALU_DEP_2)
	v_cmp_le_i32_e32 vcc_lo, s14, v20
	s_or_b32 s27, vcc_lo, s27
	v_add_co_u32 v9, s2, s8, v9
	s_delay_alu instid0(VALU_DEP_1)
	v_add_co_ci_u32_e64 v10, s2, s9, v10, s2
	global_store_b32 v[9:10], v21, off
	s_and_not1_b32 exec_lo, exec_lo, s27
	s_cbranch_execz .LBB1_94
.LBB1_105:                              ;   Parent Loop BB1_85 Depth=1
                                        ;     Parent Loop BB1_95 Depth=2
                                        ; =>    This Inner Loop Header: Depth=3
	s_delay_alu instid0(VALU_DEP_1)
	v_add_nc_u32_e32 v21, v20, v12
	s_and_b32 vcc_lo, exec_lo, s7
	s_cbranch_vccz .LBB1_113
; %bb.106:                              ;   in Loop: Header=BB1_105 Depth=3
	s_delay_alu instid0(VALU_DEP_1)
	v_mad_u64_u32 v[9:10], null, v21, s14, v[5:6]
	s_cbranch_execnz .LBB1_108
.LBB1_107:                              ;   in Loop: Header=BB1_105 Depth=3
	v_add_nc_u32_e32 v9, v14, v20
.LBB1_108:                              ;   in Loop: Header=BB1_105 Depth=3
	s_delay_alu instid0(VALU_DEP_1) | instskip(NEXT) | instid1(VALU_DEP_1)
	v_ashrrev_i32_e32 v10, 31, v9
	v_lshlrev_b64 v[9:10], 2, v[9:10]
	s_delay_alu instid0(VALU_DEP_1) | instskip(NEXT) | instid1(VALU_DEP_2)
	v_add_co_u32 v9, vcc_lo, s8, v9
	v_add_co_ci_u32_e32 v10, vcc_lo, s9, v10, vcc_lo
	s_and_b32 vcc_lo, exec_lo, s7
	global_load_b32 v22, v[9:10], off
	s_cbranch_vccz .LBB1_114
; %bb.109:                              ;   in Loop: Header=BB1_105 Depth=3
	v_mad_u64_u32 v[9:10], null, v21, s14, v[8:9]
	s_cbranch_execnz .LBB1_111
.LBB1_110:                              ;   in Loop: Header=BB1_105 Depth=3
	v_add_nc_u32_e32 v9, v19, v20
.LBB1_111:                              ;   in Loop: Header=BB1_105 Depth=3
	s_delay_alu instid0(VALU_DEP_1) | instskip(NEXT) | instid1(VALU_DEP_1)
	v_ashrrev_i32_e32 v10, 31, v9
	v_lshlrev_b64 v[9:10], 2, v[9:10]
	s_delay_alu instid0(VALU_DEP_1) | instskip(NEXT) | instid1(VALU_DEP_2)
	v_add_co_u32 v9, vcc_lo, s8, v9
	v_add_co_ci_u32_e32 v10, vcc_lo, s9, v10, vcc_lo
	s_and_b32 vcc_lo, exec_lo, s7
	global_load_b32 v23, v[9:10], off
	s_cbranch_vccz .LBB1_115
; %bb.112:                              ;   in Loop: Header=BB1_105 Depth=3
	v_mad_u64_u32 v[9:10], null, v21, s14, v[8:9]
	s_cbranch_execnz .LBB1_104
	s_branch .LBB1_103
.LBB1_113:                              ;   in Loop: Header=BB1_105 Depth=3
                                        ; implicit-def: $vgpr9
	s_branch .LBB1_107
.LBB1_114:                              ;   in Loop: Header=BB1_105 Depth=3
                                        ; implicit-def: $vgpr9
	s_branch .LBB1_110
.LBB1_115:                              ;   in Loop: Header=BB1_105 Depth=3
                                        ; implicit-def: $vgpr9
	s_branch .LBB1_103
.LBB1_116:                              ;   in Loop: Header=BB1_95 Depth=2
                                        ; implicit-def: $vgpr10
	s_branch .LBB1_97
.LBB1_117:                              ;   in Loop: Header=BB1_95 Depth=2
                                        ; implicit-def: $vgpr9
	s_branch .LBB1_100
.LBB1_118:                              ;   in Loop: Header=BB1_85 Depth=1
	s_or_b32 exec_lo, exec_lo, s22
	s_delay_alu instid0(SALU_CYCLE_1)
	s_and_b32 s2, s16, exec_lo
	s_and_not1_b32 s17, s17, exec_lo
.LBB1_119:                              ;   in Loop: Header=BB1_85 Depth=1
	s_or_b32 exec_lo, exec_lo, s21
	s_delay_alu instid0(SALU_CYCLE_1) | instskip(SKIP_1) | instid1(SALU_CYCLE_1)
	s_and_not1_b32 s1, s16, exec_lo
	s_and_b32 s2, s2, exec_lo
	s_or_b32 s16, s1, s2
	s_and_saveexec_b32 s1, s17
	s_cbranch_execz .LBB1_84
; %bb.120:                              ;   in Loop: Header=BB1_85 Depth=1
	v_add_nc_u32_e32 v18, 1, v5
	s_or_b32 s16, s16, exec_lo
	s_branch .LBB1_84
.LBB1_121:
	s_or_b32 exec_lo, exec_lo, s6
	s_delay_alu instid0(SALU_CYCLE_1) | instskip(SKIP_1) | instid1(SALU_CYCLE_1)
	s_and_not1_b32 s0, s3, exec_lo
	s_and_b32 s1, s11, exec_lo
	s_or_b32 s3, s0, s1
.LBB1_122:
	s_or_b32 exec_lo, exec_lo, s5
	v_add_nc_u32_e32 v9, 1, v4
	s_mov_b32 s1, exec_lo
	s_delay_alu instid0(VALU_DEP_1)
	v_cmpx_lt_i32_e64 v9, v16
	s_cbranch_execz .LBB1_146
; %bb.123:
	v_mul_lo_u32 v10, v4, s14
	s_mul_i32 s2, s14, s14
	v_cmp_gt_i32_e64 s0, s14, v0
	v_mul_lo_u32 v6, s2, v9
	s_cmp_lg_u32 s20, 0
	s_mov_b32 s5, 0
	s_cselect_b32 s6, -1, 0
	s_add_i32 s7, s14, 1
	v_mad_u64_u32 v[4:5], null, s14, v10, s[14:15]
	s_delay_alu instid0(VALU_DEP_2)
	v_add3_u32 v11, v6, s14, v0
	s_branch .LBB1_125
.LBB1_124:                              ;   in Loop: Header=BB1_125 Depth=1
	v_add_nc_u32_e32 v9, 1, v9
	v_add_nc_u32_e32 v11, s2, v11
	s_delay_alu instid0(VALU_DEP_2) | instskip(SKIP_1) | instid1(SALU_CYCLE_1)
	v_cmp_ge_i32_e32 vcc_lo, v9, v16
	s_or_b32 s5, vcc_lo, s5
	s_and_not1_b32 exec_lo, exec_lo, s5
	s_cbranch_execz .LBB1_146
.LBB1_125:                              ; =>This Loop Header: Depth=1
                                        ;     Child Loop BB1_128 Depth 2
                                        ;       Child Loop BB1_131 Depth 3
                                        ;         Child Loop BB1_135 Depth 4
	s_and_not1_b32 vcc_lo, exec_lo, s4
	s_cbranch_vccnz .LBB1_124
; %bb.126:                              ;   in Loop: Header=BB1_125 Depth=1
	v_mul_lo_u32 v12, v9, s14
	s_delay_alu instid0(VALU_DEP_3)
	v_dual_mov_b32 v13, v11 :: v_dual_mov_b32 v14, v4
	s_mov_b32 s10, 0
	s_branch .LBB1_128
.LBB1_127:                              ;   in Loop: Header=BB1_128 Depth=2
	s_or_b32 exec_lo, exec_lo, s16
	v_add_nc_u32_e32 v14, s7, v14
	v_add_nc_u32_e32 v13, s14, v13
	s_cmp_eq_u32 s11, s14
	s_mov_b32 s10, s11
	s_cbranch_scc1 .LBB1_124
.LBB1_128:                              ;   Parent Loop BB1_125 Depth=1
                                        ; =>  This Loop Header: Depth=2
                                        ;       Child Loop BB1_131 Depth 3
                                        ;         Child Loop BB1_135 Depth 4
	s_add_i32 s11, s10, 1
	s_and_saveexec_b32 s16, s0
	s_cbranch_execz .LBB1_127
; %bb.129:                              ;   in Loop: Header=BB1_128 Depth=2
	v_dual_mov_b32 v18, v13 :: v_dual_add_nc_u32 v5, s10, v10
	v_dual_mov_b32 v19, v0 :: v_dual_add_nc_u32 v6, s10, v12
	s_cmp_lt_i32 s11, s14
	s_delay_alu instid0(VALU_DEP_2) | instskip(SKIP_1) | instid1(VALU_DEP_2)
	v_mul_lo_u32 v15, v5, s14
	s_cselect_b32 s17, -1, 0
	v_mul_lo_u32 v17, v6, s14
	s_mov_b32 s20, 0
	s_branch .LBB1_131
.LBB1_130:                              ;   in Loop: Header=BB1_131 Depth=3
	v_add_nc_u32_e32 v19, 32, v19
	v_add_nc_u32_e32 v18, 32, v18
	s_delay_alu instid0(VALU_DEP_2) | instskip(SKIP_1) | instid1(SALU_CYCLE_1)
	v_cmp_le_i32_e32 vcc_lo, s14, v19
	s_or_b32 s20, vcc_lo, s20
	s_and_not1_b32 exec_lo, exec_lo, s20
	s_cbranch_execz .LBB1_127
.LBB1_131:                              ;   Parent Loop BB1_125 Depth=1
                                        ;     Parent Loop BB1_128 Depth=2
                                        ; =>    This Loop Header: Depth=3
                                        ;         Child Loop BB1_135 Depth 4
	s_and_not1_b32 vcc_lo, exec_lo, s17
	s_cbranch_vccnz .LBB1_130
; %bb.132:                              ;   in Loop: Header=BB1_131 Depth=3
	v_add_nc_u32_e32 v5, v19, v12
	s_delay_alu instid0(VALU_DEP_2) | instskip(SKIP_2) | instid1(VALU_DEP_2)
	v_add_nc_u32_e32 v22, v19, v17
	s_mov_b32 s21, 0
	s_mov_b32 s22, s11
	v_mul_lo_u32 v20, v5, s14
	s_delay_alu instid0(VALU_DEP_1)
	v_add_nc_u32_e32 v21, s10, v20
	s_branch .LBB1_135
.LBB1_133:                              ;   in Loop: Header=BB1_135 Depth=4
	v_mov_b32_e32 v5, v24
.LBB1_134:                              ;   in Loop: Header=BB1_135 Depth=4
	s_delay_alu instid0(VALU_DEP_1)
	v_ashrrev_i32_e32 v6, 31, v5
	s_waitcnt vmcnt(0)
	v_fma_f32 v7, -v8, v23, v7
	s_add_i32 s22, s22, 1
	s_add_i32 s21, s21, s14
	s_cmp_ge_i32 s22, s14
	v_lshlrev_b64 v[5:6], 2, v[5:6]
	s_delay_alu instid0(VALU_DEP_1) | instskip(NEXT) | instid1(VALU_DEP_2)
	v_add_co_u32 v5, vcc_lo, s8, v5
	v_add_co_ci_u32_e32 v6, vcc_lo, s9, v6, vcc_lo
	global_store_b32 v[5:6], v7, off
	s_cbranch_scc1 .LBB1_130
.LBB1_135:                              ;   Parent Loop BB1_125 Depth=1
                                        ;     Parent Loop BB1_128 Depth=2
                                        ;       Parent Loop BB1_131 Depth=3
                                        ; =>      This Inner Loop Header: Depth=4
	s_and_b32 vcc_lo, exec_lo, s6
	s_cbranch_vccz .LBB1_143
; %bb.136:                              ;   in Loop: Header=BB1_135 Depth=4
	v_add_nc_u32_e32 v5, s22, v15
	v_mov_b32_e32 v7, v21
	s_cbranch_execnz .LBB1_138
.LBB1_137:                              ;   in Loop: Header=BB1_135 Depth=4
	v_add_nc_u32_e32 v5, s21, v14
	v_mov_b32_e32 v7, v22
.LBB1_138:                              ;   in Loop: Header=BB1_135 Depth=4
	s_delay_alu instid0(VALU_DEP_2) | instskip(NEXT) | instid1(VALU_DEP_2)
	v_ashrrev_i32_e32 v6, 31, v5
	v_ashrrev_i32_e32 v8, 31, v7
	s_delay_alu instid0(VALU_DEP_2) | instskip(NEXT) | instid1(VALU_DEP_2)
	v_lshlrev_b64 v[5:6], 2, v[5:6]
	v_lshlrev_b64 v[7:8], 2, v[7:8]
	s_delay_alu instid0(VALU_DEP_2) | instskip(NEXT) | instid1(VALU_DEP_3)
	v_add_co_u32 v5, vcc_lo, s8, v5
	v_add_co_ci_u32_e32 v6, vcc_lo, s9, v6, vcc_lo
	s_delay_alu instid0(VALU_DEP_3) | instskip(NEXT) | instid1(VALU_DEP_4)
	v_add_co_u32 v23, vcc_lo, s8, v7
	v_add_co_ci_u32_e32 v24, vcc_lo, s9, v8, vcc_lo
	s_and_b32 vcc_lo, exec_lo, s6
	s_clause 0x1
	global_load_b32 v8, v[5:6], off
	global_load_b32 v23, v[23:24], off
	v_add_nc_u32_e32 v5, s22, v20
	s_cbranch_vccz .LBB1_144
; %bb.139:                              ;   in Loop: Header=BB1_135 Depth=4
	v_add_nc_u32_e32 v6, s22, v20
	v_add_nc_u32_e32 v24, s21, v18
	s_cbranch_execnz .LBB1_141
.LBB1_140:                              ;   in Loop: Header=BB1_135 Depth=4
	v_add_nc_u32_e32 v6, s21, v18
.LBB1_141:                              ;   in Loop: Header=BB1_135 Depth=4
	s_delay_alu instid0(VALU_DEP_1) | instskip(NEXT) | instid1(VALU_DEP_1)
	v_ashrrev_i32_e32 v7, 31, v6
	v_lshlrev_b64 v[6:7], 2, v[6:7]
	s_delay_alu instid0(VALU_DEP_1) | instskip(NEXT) | instid1(VALU_DEP_2)
	v_add_co_u32 v6, vcc_lo, s8, v6
	v_add_co_ci_u32_e32 v7, vcc_lo, s9, v7, vcc_lo
	s_and_b32 vcc_lo, exec_lo, s6
	global_load_b32 v7, v[6:7], off
	s_cbranch_vccz .LBB1_145
; %bb.142:                              ;   in Loop: Header=BB1_135 Depth=4
	s_cbranch_execnz .LBB1_134
	s_branch .LBB1_133
.LBB1_143:                              ;   in Loop: Header=BB1_135 Depth=4
                                        ; implicit-def: $vgpr5
	s_delay_alu instid0(VALU_DEP_1)
	v_mov_b32_e32 v7, v21
	s_branch .LBB1_137
.LBB1_144:                              ;   in Loop: Header=BB1_135 Depth=4
                                        ; implicit-def: $vgpr6
	v_add_nc_u32_e32 v24, s21, v18
	s_branch .LBB1_140
.LBB1_145:                              ;   in Loop: Header=BB1_135 Depth=4
                                        ; implicit-def: $vgpr5
	s_branch .LBB1_133
.LBB1_146:
	s_or_b32 exec_lo, exec_lo, s1
	s_delay_alu instid0(SALU_CYCLE_1)
	s_or_not1_b32 s2, s3, exec_lo
.LBB1_147:
	s_or_b32 exec_lo, exec_lo, s15
	v_cmp_eq_u32_e32 vcc_lo, 0, v0
	s_and_b32 exec_lo, exec_lo, vcc_lo
	s_cbranch_execz .LBB1_153
; %bb.148:
	v_add_co_u32 v2, vcc_lo, s12, v2
	v_add_co_ci_u32_e32 v3, vcc_lo, s13, v3, vcc_lo
	v_mov_b32_e32 v0, 1
	s_waitcnt_vscnt null, 0x0
	global_store_b32 v[2:3], v0, off
	s_and_b32 exec_lo, exec_lo, s2
	s_cbranch_execz .LBB1_153
; %bb.149:
	v_add_nc_u32_e32 v0, s24, v1
	s_mov_b32 s1, exec_lo
	s_brev_b32 s0, -2
.LBB1_150:                              ; =>This Inner Loop Header: Depth=1
	s_ctz_i32_b32 s2, s1
	s_delay_alu instid0(VALU_DEP_1) | instid1(SALU_CYCLE_1)
	v_readlane_b32 s3, v0, s2
	s_lshl_b32 s2, 1, s2
	s_delay_alu instid0(SALU_CYCLE_1) | instskip(NEXT) | instid1(VALU_DEP_1)
	s_and_not1_b32 s1, s1, s2
	s_min_i32 s0, s0, s3
	s_cmp_lg_u32 s1, 0
	s_cbranch_scc1 .LBB1_150
; %bb.151:
	v_mbcnt_lo_u32_b32 v0, exec_lo, 0
	s_mov_b32 s1, exec_lo
	s_delay_alu instid0(VALU_DEP_1)
	v_cmpx_eq_u32_e32 0, v0
	s_xor_b32 s1, exec_lo, s1
	s_cbranch_execz .LBB1_153
; %bb.152:
	v_dual_mov_b32 v0, 0 :: v_dual_mov_b32 v1, s0
	global_atomic_min_i32 v0, v1, s[18:19]
.LBB1_153:
	s_nop 0
	s_sendmsg sendmsg(MSG_DEALLOC_VGPRS)
	s_endpgm
	.section	.rodata,"a",@progbits
	.p2align	6, 0x0
	.amdhsa_kernel _ZN9rocsparseL15bsrilu0_generalILj128ELj32ELb0EfEEv20rocsparse_direction_iPKiS3_PT2_S3_iPiS3_S6_21rocsparse_index_base_imNS_24const_host_device_scalarIfEENS8_IdEENS8_IS4_EEb
		.amdhsa_group_segment_fixed_size 0
		.amdhsa_private_segment_fixed_size 0
		.amdhsa_kernarg_size 116
		.amdhsa_user_sgpr_count 15
		.amdhsa_user_sgpr_dispatch_ptr 0
		.amdhsa_user_sgpr_queue_ptr 0
		.amdhsa_user_sgpr_kernarg_segment_ptr 1
		.amdhsa_user_sgpr_dispatch_id 0
		.amdhsa_user_sgpr_private_segment_size 0
		.amdhsa_wavefront_size32 1
		.amdhsa_uses_dynamic_stack 0
		.amdhsa_enable_private_segment 0
		.amdhsa_system_sgpr_workgroup_id_x 1
		.amdhsa_system_sgpr_workgroup_id_y 0
		.amdhsa_system_sgpr_workgroup_id_z 0
		.amdhsa_system_sgpr_workgroup_info 0
		.amdhsa_system_vgpr_workitem_id 0
		.amdhsa_next_free_vgpr 34
		.amdhsa_next_free_sgpr 44
		.amdhsa_reserve_vcc 1
		.amdhsa_float_round_mode_32 0
		.amdhsa_float_round_mode_16_64 0
		.amdhsa_float_denorm_mode_32 3
		.amdhsa_float_denorm_mode_16_64 3
		.amdhsa_dx10_clamp 1
		.amdhsa_ieee_mode 1
		.amdhsa_fp16_overflow 0
		.amdhsa_workgroup_processor_mode 1
		.amdhsa_memory_ordered 1
		.amdhsa_forward_progress 0
		.amdhsa_shared_vgpr_count 0
		.amdhsa_exception_fp_ieee_invalid_op 0
		.amdhsa_exception_fp_denorm_src 0
		.amdhsa_exception_fp_ieee_div_zero 0
		.amdhsa_exception_fp_ieee_overflow 0
		.amdhsa_exception_fp_ieee_underflow 0
		.amdhsa_exception_fp_ieee_inexact 0
		.amdhsa_exception_int_div_zero 0
	.end_amdhsa_kernel
	.section	.text._ZN9rocsparseL15bsrilu0_generalILj128ELj32ELb0EfEEv20rocsparse_direction_iPKiS3_PT2_S3_iPiS3_S6_21rocsparse_index_base_imNS_24const_host_device_scalarIfEENS8_IdEENS8_IS4_EEb,"axG",@progbits,_ZN9rocsparseL15bsrilu0_generalILj128ELj32ELb0EfEEv20rocsparse_direction_iPKiS3_PT2_S3_iPiS3_S6_21rocsparse_index_base_imNS_24const_host_device_scalarIfEENS8_IdEENS8_IS4_EEb,comdat
.Lfunc_end1:
	.size	_ZN9rocsparseL15bsrilu0_generalILj128ELj32ELb0EfEEv20rocsparse_direction_iPKiS3_PT2_S3_iPiS3_S6_21rocsparse_index_base_imNS_24const_host_device_scalarIfEENS8_IdEENS8_IS4_EEb, .Lfunc_end1-_ZN9rocsparseL15bsrilu0_generalILj128ELj32ELb0EfEEv20rocsparse_direction_iPKiS3_PT2_S3_iPiS3_S6_21rocsparse_index_base_imNS_24const_host_device_scalarIfEENS8_IdEENS8_IS4_EEb
                                        ; -- End function
	.section	.AMDGPU.csdata,"",@progbits
; Kernel info:
; codeLenInByte = 4308
; NumSgprs: 46
; NumVgprs: 34
; ScratchSize: 0
; MemoryBound: 0
; FloatMode: 240
; IeeeMode: 1
; LDSByteSize: 0 bytes/workgroup (compile time only)
; SGPRBlocks: 5
; VGPRBlocks: 4
; NumSGPRsForWavesPerEU: 46
; NumVGPRsForWavesPerEU: 34
; Occupancy: 16
; WaveLimiterHint : 1
; COMPUTE_PGM_RSRC2:SCRATCH_EN: 0
; COMPUTE_PGM_RSRC2:USER_SGPR: 15
; COMPUTE_PGM_RSRC2:TRAP_HANDLER: 0
; COMPUTE_PGM_RSRC2:TGID_X_EN: 1
; COMPUTE_PGM_RSRC2:TGID_Y_EN: 0
; COMPUTE_PGM_RSRC2:TGID_Z_EN: 0
; COMPUTE_PGM_RSRC2:TIDIG_COMP_CNT: 0
	.section	.text._ZN9rocsparseL11bsrilu0_2_8ILj64ELj64ELj8EfEEv20rocsparse_direction_iPKiS3_PT2_S3_iPiS3_S6_21rocsparse_index_base_imNS_24const_host_device_scalarIfEENS8_IdEENS8_IS4_EEb,"axG",@progbits,_ZN9rocsparseL11bsrilu0_2_8ILj64ELj64ELj8EfEEv20rocsparse_direction_iPKiS3_PT2_S3_iPiS3_S6_21rocsparse_index_base_imNS_24const_host_device_scalarIfEENS8_IdEENS8_IS4_EEb,comdat
	.globl	_ZN9rocsparseL11bsrilu0_2_8ILj64ELj64ELj8EfEEv20rocsparse_direction_iPKiS3_PT2_S3_iPiS3_S6_21rocsparse_index_base_imNS_24const_host_device_scalarIfEENS8_IdEENS8_IS4_EEb ; -- Begin function _ZN9rocsparseL11bsrilu0_2_8ILj64ELj64ELj8EfEEv20rocsparse_direction_iPKiS3_PT2_S3_iPiS3_S6_21rocsparse_index_base_imNS_24const_host_device_scalarIfEENS8_IdEENS8_IS4_EEb
	.p2align	8
	.type	_ZN9rocsparseL11bsrilu0_2_8ILj64ELj64ELj8EfEEv20rocsparse_direction_iPKiS3_PT2_S3_iPiS3_S6_21rocsparse_index_base_imNS_24const_host_device_scalarIfEENS8_IdEENS8_IS4_EEb,@function
_ZN9rocsparseL11bsrilu0_2_8ILj64ELj64ELj8EfEEv20rocsparse_direction_iPKiS3_PT2_S3_iPiS3_S6_21rocsparse_index_base_imNS_24const_host_device_scalarIfEENS8_IdEENS8_IS4_EEb: ; @_ZN9rocsparseL11bsrilu0_2_8ILj64ELj64ELj8EfEEv20rocsparse_direction_iPKiS3_PT2_S3_iPiS3_S6_21rocsparse_index_base_imNS_24const_host_device_scalarIfEENS8_IdEENS8_IS4_EEb
; %bb.0:
	s_mov_b32 s2, s15
	s_clause 0x2
	s_load_b32 s3, s[0:1], 0x70
	s_load_b64 s[20:21], s[0:1], 0x48
	s_load_b256 s[12:19], s[0:1], 0x50
	s_waitcnt lgkmcnt(0)
	s_bitcmp1_b32 s3, 0
	s_cselect_b32 s3, -1, 0
	s_cmp_lg_u32 s21, 0
	s_cselect_b32 s34, -1, 0
	s_cmp_eq_u32 s21, 0
	s_cselect_b32 s6, -1, 0
	s_delay_alu instid0(SALU_CYCLE_1) | instskip(SKIP_3) | instid1(SALU_CYCLE_1)
	s_and_b32 s4, s6, exec_lo
	s_cselect_b32 s4, 0, s16
	s_cselect_b32 s5, 0, s17
	s_or_b32 s3, s6, s3
	s_and_b32 vcc_lo, exec_lo, s3
	s_xor_b32 s3, s3, -1
	s_cbranch_vccnz .LBB2_2
; %bb.1:
	s_load_b32 s4, s[14:15], 0x0
	s_waitcnt lgkmcnt(0)
	v_mov_b32_e32 v11, s4
	s_mov_b64 s[4:5], s[16:17]
	s_branch .LBB2_3
.LBB2_2:
	v_cndmask_b32_e64 v11, s14, 0, s6
.LBB2_3:
	v_cndmask_b32_e64 v3, 0, 1, s3
	v_dual_mov_b32 v1, s4 :: v_dual_mov_b32 v2, s5
	s_and_not1_b32 vcc_lo, exec_lo, s3
	s_cbranch_vccnz .LBB2_5
; %bb.4:
	v_dual_mov_b32 v1, s16 :: v_dual_mov_b32 v2, s17
	flat_load_b64 v[1:2], v[1:2]
.LBB2_5:
	s_delay_alu instid0(VALU_DEP_2)
	v_cmp_ne_u32_e32 vcc_lo, 1, v3
	s_mov_b32 s3, 0
	s_cbranch_vccnz .LBB2_7
; %bb.6:
	s_load_b32 s4, s[18:19], 0x0
	s_waitcnt lgkmcnt(0)
	v_mov_b32_e32 v10, s4
	s_branch .LBB2_8
.LBB2_7:
	v_cndmask_b32_e64 v10, s18, 0, s6
.LBB2_8:
	s_clause 0x1
	s_load_b128 s[16:19], s[0:1], 0x30
	s_load_b64 s[14:15], s[0:1], 0x40
	s_lshl_b64 s[2:3], s[2:3], 2
	s_waitcnt lgkmcnt(0)
	s_add_u32 s2, s18, s2
	s_addc_u32 s3, s19, s3
	s_load_b32 s18, s[2:3], 0x0
	s_load_b256 s[4:11], s[0:1], 0x8
	s_waitcnt lgkmcnt(0)
	s_ashr_i32 s19, s18, 31
	s_delay_alu instid0(SALU_CYCLE_1) | instskip(NEXT) | instid1(SALU_CYCLE_1)
	s_lshl_b64 s[22:23], s[18:19], 2
	s_add_u32 s2, s10, s22
	s_addc_u32 s3, s11, s23
	s_load_b32 s24, s[2:3], 0x0
	s_waitcnt lgkmcnt(0)
	s_cmp_eq_u32 s24, -1
	s_cbranch_scc1 .LBB2_82
; %bb.9:
	s_add_u32 s2, s4, s22
	s_addc_u32 s3, s5, s23
	s_mov_b32 s19, 0
	s_load_b64 s[2:3], s[2:3], 0x0
	s_clause 0x1
	s_load_b64 s[26:27], s[0:1], 0x0
	s_load_b32 s21, s[0:1], 0x28
	s_waitcnt lgkmcnt(0)
	s_sub_i32 s28, s2, s20
	s_sub_i32 s33, s3, s20
	s_cmp_ge_i32 s28, s24
	s_cbranch_scc1 .LBB2_60
; %bb.10:
	v_bfe_u32 v13, v0, 10, 10
	v_and_b32_e32 v12, 0x3ff, v0
	s_cmp_eq_u32 s26, 0
	v_mov_b32_e32 v24, 0
	s_cselect_b32 vcc_lo, -1, 0
	v_mul_u32_u24_e32 v4, 9, v13
	v_lshlrev_b32_e32 v5, 2, v12
	v_max_u32_e32 v3, v12, v13
	s_cmp_gt_i32 s21, 0
	v_mul_u32_u24_e32 v14, 36, v13
	v_lshlrev_b32_e32 v18, 2, v4
	v_cndmask_b32_e32 v4, v12, v13, vcc_lo
	s_cselect_b32 s25, -1, 0
	s_add_u32 s30, s0, 0x78
	s_addc_u32 s31, s1, 0
	s_add_i32 s27, s27, 1
	v_mad_u32_u24 v15, v13, 36, v5
	v_cmp_gt_u32_e64 s3, s21, v3
	s_cmp_lg_u32 s21, 1
	v_dual_cndmask_b32 v3, v13, v12 :: v_dual_add_nc_u32 v6, v18, v5
	s_cselect_b32 s35, -1, 0
	s_and_b32 s36, s21, 0x7ffffffe
	s_bitcmp1_b32 s21, 0
	v_cmp_eq_u32_e64 s2, 0, v13
	v_add_nc_u32_e32 v16, s28, v12
	v_add_nc_u32_e32 v17, 0x120, v15
	s_cselect_b32 s37, -1, 0
	s_add_u32 s38, s4, 4
	v_add_nc_u32_e32 v19, 0x168, v6
	v_add_nc_u32_e32 v20, 0x144, v6
	;; [unrolled: 1-line block ×5, first 2 shown]
	s_addc_u32 s39, s5, 0
	s_add_u32 s40, s6, 0x100
	s_addc_u32 s41, s7, 0
	s_branch .LBB2_13
.LBB2_11:                               ;   in Loop: Header=BB2_13 Depth=1
	s_mov_b32 s19, -1
.LBB2_12:                               ;   in Loop: Header=BB2_13 Depth=1
	s_add_i32 s28, s28, 1
	s_delay_alu instid0(SALU_CYCLE_1) | instskip(SKIP_1) | instid1(SALU_CYCLE_1)
	s_cmp_lt_i32 s28, s24
	s_cselect_b32 s1, -1, 0
	s_and_b32 s0, s0, s1
	s_delay_alu instid0(SALU_CYCLE_1)
	s_and_b32 vcc_lo, exec_lo, s0
	s_cbranch_vccz .LBB2_60
.LBB2_13:                               ; =>This Loop Header: Depth=1
                                        ;     Child Loop BB2_17 Depth 2
                                        ;     Child Loop BB2_24 Depth 2
	;; [unrolled: 1-line block ×3, first 2 shown]
                                        ;       Child Loop BB2_49 Depth 3
                                        ;       Child Loop BB2_57 Depth 3
	s_ashr_i32 s29, s28, 31
	s_delay_alu instid0(SALU_CYCLE_1) | instskip(NEXT) | instid1(SALU_CYCLE_1)
	s_lshl_b64 s[0:1], s[28:29], 2
	s_add_u32 s0, s6, s0
	s_addc_u32 s1, s7, s1
	global_load_b32 v5, v24, s[0:1]
	s_waitcnt vmcnt(0)
	v_readfirstlane_b32 s0, v5
	v_mov_b32_e32 v5, 0
	s_and_saveexec_b32 s1, s3
	s_cbranch_execz .LBB2_15
; %bb.14:                               ;   in Loop: Header=BB2_13 Depth=1
	v_mad_u64_u32 v[5:6], null, s28, s21, v[3:4]
	s_delay_alu instid0(VALU_DEP_1) | instskip(SKIP_1) | instid1(VALU_DEP_1)
	v_mad_u64_u32 v[6:7], null, v5, s21, v[4:5]
	v_mov_b32_e32 v7, v24
	v_lshlrev_b64 v[5:6], 2, v[6:7]
	s_delay_alu instid0(VALU_DEP_1) | instskip(NEXT) | instid1(VALU_DEP_2)
	v_add_co_u32 v5, vcc_lo, s8, v5
	v_add_co_ci_u32_e32 v6, vcc_lo, s9, v6, vcc_lo
	global_load_b32 v5, v[5:6], off
.LBB2_15:                               ;   in Loop: Header=BB2_13 Depth=1
	s_or_b32 exec_lo, exec_lo, s1
	s_sub_i32 s0, s0, s20
	s_waitcnt vmcnt(0)
	ds_store_b32 v17, v5
	s_ashr_i32 s1, s0, 31
	s_delay_alu instid0(SALU_CYCLE_1) | instskip(NEXT) | instid1(SALU_CYCLE_1)
	s_lshl_b64 s[4:5], s[0:1], 2
	s_add_u32 s0, s10, s4
	s_addc_u32 s1, s11, s5
	global_load_b32 v6, v24, s[0:1]
	s_waitcnt vmcnt(0)
	v_cmp_eq_u32_e32 vcc_lo, -1, v6
	v_readfirstlane_b32 s1, v6
	v_cmp_ne_u32_e64 s0, -1, v6
	s_cbranch_vccnz .LBB2_11
; %bb.16:                               ;   in Loop: Header=BB2_13 Depth=1
	s_add_u32 s42, s38, s4
	s_addc_u32 s43, s39, s5
	s_add_u32 s4, s16, s4
	global_load_b32 v5, v24, s[42:43]
	s_addc_u32 s5, s17, s5
	s_waitcnt vmcnt(0)
	v_readfirstlane_b32 s29, v5
.LBB2_17:                               ;   Parent Loop BB2_13 Depth=1
                                        ; =>  This Inner Loop Header: Depth=2
	global_load_b32 v5, v24, s[4:5] glc
	s_waitcnt vmcnt(0)
	v_cmp_eq_u32_e32 vcc_lo, 0, v5
	s_cbranch_vccnz .LBB2_17
; %bb.18:                               ;   in Loop: Header=BB2_13 Depth=1
	v_mov_b32_e32 v5, 0
	s_waitcnt lgkmcnt(0)
	buffer_gl1_inv
	buffer_gl0_inv
	s_and_saveexec_b32 s4, s3
	s_cbranch_execz .LBB2_20
; %bb.19:                               ;   in Loop: Header=BB2_13 Depth=1
	v_mad_u64_u32 v[5:6], null, s1, s21, v[3:4]
	s_delay_alu instid0(VALU_DEP_1) | instskip(SKIP_1) | instid1(VALU_DEP_1)
	v_mad_u64_u32 v[6:7], null, v5, s21, v[4:5]
	v_mov_b32_e32 v7, v24
	v_lshlrev_b64 v[5:6], 2, v[6:7]
	s_delay_alu instid0(VALU_DEP_1) | instskip(NEXT) | instid1(VALU_DEP_2)
	v_add_co_u32 v5, vcc_lo, s8, v5
	v_add_co_ci_u32_e32 v6, vcc_lo, s9, v6, vcc_lo
	global_load_b32 v5, v[5:6], off
.LBB2_20:                               ;   in Loop: Header=BB2_13 Depth=1
	s_or_b32 exec_lo, exec_lo, s4
	s_delay_alu instid0(SALU_CYCLE_1)
	s_and_not1_b32 vcc_lo, exec_lo, s25
	s_waitcnt vmcnt(0)
	ds_store_b32 v15, v5
	s_waitcnt lgkmcnt(0)
	buffer_gl0_inv
	s_cbranch_vccnz .LBB2_38
; %bb.21:                               ;   in Loop: Header=BB2_13 Depth=1
	s_and_not1_b32 vcc_lo, exec_lo, s35
	s_mov_b32 s42, 0
	s_cbranch_vccnz .LBB2_32
; %bb.22:                               ;   in Loop: Header=BB2_13 Depth=1
	v_dual_mov_b32 v5, v23 :: v_dual_mov_b32 v6, v22
	v_dual_mov_b32 v7, v21 :: v_dual_mov_b32 v8, v20
	v_mov_b32_e32 v9, v19
	s_mov_b32 s4, 0
	s_mov_b32 s5, 0
	s_branch .LBB2_24
.LBB2_23:                               ;   in Loop: Header=BB2_24 Depth=2
	s_or_b32 exec_lo, exec_lo, s42
	v_add_nc_u32_e32 v9, 0x48, v9
	v_add_nc_u32_e32 v8, 0x48, v8
	;; [unrolled: 1-line block ×5, first 2 shown]
	s_add_i32 s5, s5, 2
	s_addk_i32 s4, 0x50
	s_cmp_eq_u32 s36, s5
	s_mov_b32 s42, s36
	s_waitcnt lgkmcnt(0)
	buffer_gl0_inv
	s_cbranch_scc1 .LBB2_32
.LBB2_24:                               ;   Parent Loop BB2_13 Depth=1
                                        ; =>  This Inner Loop Header: Depth=2
	v_mov_b32_e32 v25, s4
	ds_load_b32 v25, v25
	ds_load_b32 v26, v7
	s_waitcnt lgkmcnt(0)
	buffer_gl0_inv
	v_div_scale_f32 v27, null, v25, v25, v26
	s_delay_alu instid0(VALU_DEP_1) | instskip(SKIP_2) | instid1(VALU_DEP_1)
	v_rcp_f32_e32 v28, v27
	s_waitcnt_depctr 0xfff
	v_fma_f32 v29, -v27, v28, 1.0
	v_fmac_f32_e32 v28, v29, v28
	v_div_scale_f32 v29, vcc_lo, v26, v25, v26
	s_delay_alu instid0(VALU_DEP_1) | instskip(NEXT) | instid1(VALU_DEP_1)
	v_mul_f32_e32 v30, v29, v28
	v_fma_f32 v31, -v27, v30, v29
	s_delay_alu instid0(VALU_DEP_1) | instskip(NEXT) | instid1(VALU_DEP_1)
	v_fmac_f32_e32 v30, v31, v28
	v_fma_f32 v27, -v27, v30, v29
	s_delay_alu instid0(VALU_DEP_1) | instskip(NEXT) | instid1(VALU_DEP_1)
	v_div_fmas_f32 v27, v27, v28, v30
	v_div_fixup_f32 v26, v27, v25, v26
	s_and_saveexec_b32 s42, s2
	s_cbranch_execz .LBB2_26
; %bb.25:                               ;   in Loop: Header=BB2_24 Depth=2
	ds_store_b32 v7, v26
.LBB2_26:                               ;   in Loop: Header=BB2_24 Depth=2
	s_or_b32 exec_lo, exec_lo, s42
	v_add_nc_u32_e32 v25, s5, v13
	s_mov_b32 s42, exec_lo
	s_delay_alu instid0(VALU_DEP_1) | instskip(NEXT) | instid1(VALU_DEP_1)
	v_add_nc_u32_e32 v27, 1, v25
	v_cmpx_gt_i32_e64 s21, v27
	s_cbranch_execz .LBB2_28
; %bb.27:                               ;   in Loop: Header=BB2_24 Depth=2
	ds_load_b32 v27, v5
	ds_load_b32 v28, v8
	s_waitcnt lgkmcnt(0)
	v_fma_f32 v26, -v26, v27, v28
	ds_store_b32 v8, v26
.LBB2_28:                               ;   in Loop: Header=BB2_24 Depth=2
	s_or_b32 exec_lo, exec_lo, s42
	v_mov_b32_e32 v26, s4
	s_waitcnt lgkmcnt(0)
	buffer_gl0_inv
	ds_load_b32 v26, v26 offset:40
	ds_load_b32 v27, v7 offset:36
	s_waitcnt lgkmcnt(0)
	buffer_gl0_inv
	v_div_scale_f32 v28, null, v26, v26, v27
	s_delay_alu instid0(VALU_DEP_1) | instskip(SKIP_2) | instid1(VALU_DEP_1)
	v_rcp_f32_e32 v29, v28
	s_waitcnt_depctr 0xfff
	v_fma_f32 v30, -v28, v29, 1.0
	v_fmac_f32_e32 v29, v30, v29
	v_div_scale_f32 v30, vcc_lo, v27, v26, v27
	s_delay_alu instid0(VALU_DEP_1) | instskip(NEXT) | instid1(VALU_DEP_1)
	v_mul_f32_e32 v31, v30, v29
	v_fma_f32 v32, -v28, v31, v30
	s_delay_alu instid0(VALU_DEP_1) | instskip(NEXT) | instid1(VALU_DEP_1)
	v_fmac_f32_e32 v31, v32, v29
	v_fma_f32 v28, -v28, v31, v30
	s_delay_alu instid0(VALU_DEP_1) | instskip(NEXT) | instid1(VALU_DEP_1)
	v_div_fmas_f32 v28, v28, v29, v31
	v_div_fixup_f32 v26, v28, v26, v27
	s_and_saveexec_b32 s42, s2
	s_cbranch_execz .LBB2_30
; %bb.29:                               ;   in Loop: Header=BB2_24 Depth=2
	ds_store_b32 v7, v26 offset:36
.LBB2_30:                               ;   in Loop: Header=BB2_24 Depth=2
	s_or_b32 exec_lo, exec_lo, s42
	v_add_nc_u32_e32 v25, 2, v25
	s_mov_b32 s42, exec_lo
	s_delay_alu instid0(VALU_DEP_1)
	v_cmpx_gt_i32_e64 s21, v25
	s_cbranch_execz .LBB2_23
; %bb.31:                               ;   in Loop: Header=BB2_24 Depth=2
	ds_load_b32 v25, v6
	ds_load_b32 v27, v9
	s_waitcnt lgkmcnt(0)
	v_fma_f32 v25, -v26, v25, v27
	ds_store_b32 v9, v25
	s_branch .LBB2_23
.LBB2_32:                               ;   in Loop: Header=BB2_13 Depth=1
	s_and_not1_b32 vcc_lo, exec_lo, s37
	s_cbranch_vccnz .LBB2_38
; %bb.33:                               ;   in Loop: Header=BB2_13 Depth=1
	s_lshl_b32 s4, s42, 2
	s_mul_i32 s5, s42, 36
	s_delay_alu instid0(SALU_CYCLE_1)
	s_add_i32 s4, s5, s4
	v_lshl_add_u32 v6, v12, 2, s5
	v_mov_b32_e32 v5, s4
	ds_load_b32 v5, v5
	ds_load_b32 v7, v6 offset:288
	s_waitcnt lgkmcnt(0)
	buffer_gl0_inv
	v_add_nc_u32_e32 v6, 0x120, v6
	v_div_scale_f32 v8, null, v5, v5, v7
	s_delay_alu instid0(VALU_DEP_1) | instskip(SKIP_2) | instid1(VALU_DEP_1)
	v_rcp_f32_e32 v9, v8
	s_waitcnt_depctr 0xfff
	v_fma_f32 v25, -v8, v9, 1.0
	v_fmac_f32_e32 v9, v25, v9
	v_div_scale_f32 v25, vcc_lo, v7, v5, v7
	s_delay_alu instid0(VALU_DEP_1) | instskip(NEXT) | instid1(VALU_DEP_1)
	v_mul_f32_e32 v26, v25, v9
	v_fma_f32 v27, -v8, v26, v25
	s_delay_alu instid0(VALU_DEP_1) | instskip(NEXT) | instid1(VALU_DEP_1)
	v_fmac_f32_e32 v26, v27, v9
	v_fma_f32 v8, -v8, v26, v25
	s_delay_alu instid0(VALU_DEP_1) | instskip(NEXT) | instid1(VALU_DEP_1)
	v_div_fmas_f32 v8, v8, v9, v26
	v_div_fixup_f32 v5, v8, v5, v7
	s_and_saveexec_b32 s5, s2
	s_cbranch_execz .LBB2_35
; %bb.34:                               ;   in Loop: Header=BB2_13 Depth=1
	ds_store_b32 v6, v5
.LBB2_35:                               ;   in Loop: Header=BB2_13 Depth=1
	s_or_b32 exec_lo, exec_lo, s5
	v_add3_u32 v7, s42, 1, v13
	s_mov_b32 s5, exec_lo
	s_delay_alu instid0(VALU_DEP_1)
	v_cmpx_gt_i32_e64 s21, v7
	s_cbranch_execz .LBB2_37
; %bb.36:                               ;   in Loop: Header=BB2_13 Depth=1
	v_add_nc_u32_e32 v7, s4, v18
	v_add_nc_u32_e32 v6, v6, v18
	ds_load_b32 v7, v7 offset:36
	ds_load_b32 v8, v6 offset:36
	s_waitcnt lgkmcnt(0)
	v_fma_f32 v5, -v5, v7, v8
	ds_store_b32 v6, v5 offset:36
.LBB2_37:                               ;   in Loop: Header=BB2_13 Depth=1
	s_or_b32 exec_lo, exec_lo, s5
	s_waitcnt lgkmcnt(0)
	buffer_gl0_inv
.LBB2_38:                               ;   in Loop: Header=BB2_13 Depth=1
	s_and_saveexec_b32 s4, s3
	s_cbranch_execz .LBB2_40
; %bb.39:                               ;   in Loop: Header=BB2_13 Depth=1
	v_mad_u64_u32 v[5:6], null, s28, s21, v[3:4]
	ds_load_b32 v8, v17
	v_mad_u64_u32 v[6:7], null, v5, s21, v[4:5]
	v_mov_b32_e32 v7, v24
	s_delay_alu instid0(VALU_DEP_1) | instskip(NEXT) | instid1(VALU_DEP_1)
	v_lshlrev_b64 v[5:6], 2, v[6:7]
	v_add_co_u32 v5, vcc_lo, s8, v5
	s_delay_alu instid0(VALU_DEP_2)
	v_add_co_ci_u32_e32 v6, vcc_lo, s9, v6, vcc_lo
	s_waitcnt lgkmcnt(0)
	global_store_b32 v[5:6], v8, off
.LBB2_40:                               ;   in Loop: Header=BB2_13 Depth=1
	s_or_b32 exec_lo, exec_lo, s4
	s_sub_i32 s29, s29, s20
	s_add_i32 s4, s1, 1
	s_delay_alu instid0(SALU_CYCLE_1)
	s_cmp_ge_i32 s4, s29
	s_cbranch_scc1 .LBB2_12
; %bb.41:                               ;   in Loop: Header=BB2_13 Depth=1
	s_load_b32 s1, s[30:31], 0xc
	s_waitcnt lgkmcnt(0)
	s_and_b32 s1, s1, 0xffff
	s_delay_alu instid0(SALU_CYCLE_1) | instskip(NEXT) | instid1(VALU_DEP_1)
	v_mad_u32_u24 v5, v13, s1, v16
	v_ashrrev_i32_e32 v6, 31, v5
	v_cmp_gt_i32_e64 s1, s33, v5
	s_delay_alu instid0(VALU_DEP_2) | instskip(NEXT) | instid1(VALU_DEP_1)
	v_lshlrev_b64 v[6:7], 2, v[5:6]
	v_add_co_u32 v6, vcc_lo, s6, v6
	s_delay_alu instid0(VALU_DEP_2)
	v_add_co_ci_u32_e32 v7, vcc_lo, s7, v7, vcc_lo
	s_branch .LBB2_44
.LBB2_42:                               ;   in Loop: Header=BB2_44 Depth=2
	s_or_b32 exec_lo, exec_lo, s5
.LBB2_43:                               ;   in Loop: Header=BB2_44 Depth=2
	s_add_i32 s4, s4, 1
	s_waitcnt_vscnt null, 0x0
	buffer_gl0_inv
	s_cmp_lt_i32 s4, s29
	s_cbranch_scc0 .LBB2_12
.LBB2_44:                               ;   Parent Loop BB2_13 Depth=1
                                        ; =>  This Loop Header: Depth=2
                                        ;       Child Loop BB2_49 Depth 3
                                        ;       Child Loop BB2_57 Depth 3
	s_ashr_i32 s5, s4, 31
	v_mov_b32_e32 v9, s27
	s_lshl_b64 s[42:43], s[4:5], 2
	s_delay_alu instid0(SALU_CYCLE_1)
	s_add_u32 s42, s6, s42
	s_addc_u32 s43, s7, s43
	global_load_b32 v8, v24, s[42:43]
	s_and_saveexec_b32 s5, s1
	s_cbranch_execz .LBB2_46
; %bb.45:                               ;   in Loop: Header=BB2_44 Depth=2
	global_load_b32 v9, v[6:7], off
	s_waitcnt vmcnt(0)
	v_subrev_nc_u32_e32 v9, s20, v9
.LBB2_46:                               ;   in Loop: Header=BB2_44 Depth=2
	s_or_b32 exec_lo, exec_lo, s5
	s_waitcnt vmcnt(0)
	v_subrev_nc_u32_e32 v25, s20, v8
	v_mov_b32_e32 v26, v5
	s_mov_b32 s5, exec_lo
	s_delay_alu instid0(VALU_DEP_2)
	v_cmpx_lt_i32_e64 v9, v25
	s_cbranch_execz .LBB2_52
; %bb.47:                               ;   in Loop: Header=BB2_44 Depth=2
	v_mov_b32_e32 v8, v5
	s_mov_b32 s42, 0
	s_branch .LBB2_49
	.p2align	6
.LBB2_48:                               ;   in Loop: Header=BB2_49 Depth=3
	s_or_b32 exec_lo, exec_lo, s43
	s_delay_alu instid0(VALU_DEP_1) | instskip(SKIP_2) | instid1(SALU_CYCLE_1)
	v_cmp_ge_i32_e32 vcc_lo, v9, v25
	v_mov_b32_e32 v8, v26
	s_or_b32 s42, vcc_lo, s42
	s_and_not1_b32 exec_lo, exec_lo, s42
	s_cbranch_execz .LBB2_51
.LBB2_49:                               ;   Parent Loop BB2_13 Depth=1
                                        ;     Parent Loop BB2_44 Depth=2
                                        ; =>    This Inner Loop Header: Depth=3
	s_delay_alu instid0(VALU_DEP_1) | instskip(SKIP_1) | instid1(VALU_DEP_1)
	v_dual_mov_b32 v9, s27 :: v_dual_add_nc_u32 v26, 64, v8
	s_mov_b32 s43, exec_lo
	v_cmpx_gt_i32_e64 s33, v26
	s_cbranch_execz .LBB2_48
; %bb.50:                               ;   in Loop: Header=BB2_49 Depth=3
	v_ashrrev_i32_e32 v9, 31, v8
	s_delay_alu instid0(VALU_DEP_1) | instskip(NEXT) | instid1(VALU_DEP_1)
	v_lshlrev_b64 v[8:9], 2, v[8:9]
	v_add_co_u32 v8, vcc_lo, s40, v8
	s_delay_alu instid0(VALU_DEP_2)
	v_add_co_ci_u32_e32 v9, vcc_lo, s41, v9, vcc_lo
	global_load_b32 v8, v[8:9], off
	s_waitcnt vmcnt(0)
	v_subrev_nc_u32_e32 v9, s20, v8
	s_branch .LBB2_48
.LBB2_51:                               ;   in Loop: Header=BB2_44 Depth=2
	s_or_b32 exec_lo, exec_lo, s42
.LBB2_52:                               ;   in Loop: Header=BB2_44 Depth=2
	s_delay_alu instid0(SALU_CYCLE_1)
	s_or_b32 exec_lo, exec_lo, s5
	v_cmp_eq_u32_e32 vcc_lo, v9, v25
	s_cbranch_vccz .LBB2_43
; %bb.53:                               ;   in Loop: Header=BB2_44 Depth=2
	s_ctz_i32_b32 s5, vcc_lo
	v_mov_b32_e32 v25, 0
	s_lshl_b32 s5, s5, 2
	s_delay_alu instid0(SALU_CYCLE_1)
	v_mov_b32_e32 v8, s5
	ds_bpermute_b32 v9, v8, v26
	v_mov_b32_e32 v8, 0
	s_and_saveexec_b32 s5, s3
	s_cbranch_execz .LBB2_55
; %bb.54:                               ;   in Loop: Header=BB2_44 Depth=2
	v_mad_u64_u32 v[25:26], null, s4, s21, v[3:4]
	s_delay_alu instid0(VALU_DEP_1) | instskip(SKIP_1) | instid1(VALU_DEP_1)
	v_mad_u64_u32 v[26:27], null, v25, s21, v[4:5]
	v_mov_b32_e32 v27, v24
	v_lshlrev_b64 v[25:26], 2, v[26:27]
	s_delay_alu instid0(VALU_DEP_1) | instskip(NEXT) | instid1(VALU_DEP_2)
	v_add_co_u32 v25, vcc_lo, s8, v25
	v_add_co_ci_u32_e32 v26, vcc_lo, s9, v26, vcc_lo
	global_load_b32 v25, v[25:26], off
.LBB2_55:                               ;   in Loop: Header=BB2_44 Depth=2
	s_or_b32 exec_lo, exec_lo, s5
	s_delay_alu instid0(SALU_CYCLE_1)
	s_and_not1_b32 vcc_lo, exec_lo, s25
	s_waitcnt vmcnt(0)
	ds_store_b32 v15, v25
	s_waitcnt lgkmcnt(0)
	s_waitcnt_vscnt null, 0x0
	buffer_gl0_inv
	s_cbranch_vccnz .LBB2_58
; %bb.56:                               ;   in Loop: Header=BB2_44 Depth=2
	v_dual_mov_b32 v8, 0 :: v_dual_mov_b32 v25, v21
	v_mov_b32_e32 v26, v14
	s_mov_b32 s5, s21
.LBB2_57:                               ;   Parent Loop BB2_13 Depth=1
                                        ;     Parent Loop BB2_44 Depth=2
                                        ; =>    This Inner Loop Header: Depth=3
	ds_load_b32 v27, v25
	ds_load_b32 v28, v26
	v_add_nc_u32_e32 v26, 4, v26
	v_add_nc_u32_e32 v25, 36, v25
	s_add_i32 s5, s5, -1
	s_delay_alu instid0(SALU_CYCLE_1)
	s_cmp_eq_u32 s5, 0
	s_waitcnt lgkmcnt(0)
	v_fmac_f32_e32 v8, v27, v28
	s_cbranch_scc0 .LBB2_57
.LBB2_58:                               ;   in Loop: Header=BB2_44 Depth=2
	s_and_saveexec_b32 s5, s3
	s_cbranch_execz .LBB2_42
; %bb.59:                               ;   in Loop: Header=BB2_44 Depth=2
	v_mad_u64_u32 v[25:26], null, v9, s21, v[3:4]
	s_delay_alu instid0(VALU_DEP_1) | instskip(SKIP_1) | instid1(VALU_DEP_1)
	v_mad_u64_u32 v[26:27], null, v25, s21, v[4:5]
	v_mov_b32_e32 v27, v24
	v_lshlrev_b64 v[25:26], 2, v[26:27]
	s_delay_alu instid0(VALU_DEP_1) | instskip(NEXT) | instid1(VALU_DEP_2)
	v_add_co_u32 v25, vcc_lo, s8, v25
	v_add_co_ci_u32_e32 v26, vcc_lo, s9, v26, vcc_lo
	global_load_b32 v9, v[25:26], off
	s_waitcnt vmcnt(0)
	v_sub_f32_e32 v8, v9, v8
	global_store_b32 v[25:26], v8, off
	s_branch .LBB2_42
.LBB2_60:
	s_ashr_i32 s25, s24, 31
	v_mov_b32_e32 v6, 0
	s_lshl_b64 s[0:1], s[24:25], 2
	s_delay_alu instid0(SALU_CYCLE_1) | instskip(SKIP_4) | instid1(VALU_DEP_1)
	s_add_u32 s0, s6, s0
	s_addc_u32 s1, s7, s1
	global_load_b32 v3, v6, s[0:1]
	s_waitcnt vmcnt(0)
	v_subrev_nc_u32_e32 v3, s20, v3
	v_cmp_ne_u32_e32 vcc_lo, s18, v3
	s_cbranch_vccnz .LBB2_86
; %bb.61:
	v_and_b32_e32 v3, 0x3ff, v0
	v_bfe_u32 v4, v0, 10, 10
	s_delay_alu instid0(VALU_DEP_1) | instskip(NEXT) | instid1(VALU_DEP_1)
	v_max_u32_e32 v5, v3, v4
	v_cmp_gt_u32_e64 s0, s21, v5
	s_delay_alu instid0(VALU_DEP_1)
	s_and_saveexec_b32 s1, s0
	s_cbranch_execz .LBB2_63
; %bb.62:
	s_cmp_eq_u32 s26, 0
	s_cselect_b32 vcc_lo, -1, 0
	v_cndmask_b32_e32 v5, v4, v3, vcc_lo
	s_delay_alu instid0(VALU_DEP_1) | instskip(SKIP_1) | instid1(VALU_DEP_1)
	v_mad_u64_u32 v[6:7], null, s24, s21, v[5:6]
	v_cndmask_b32_e32 v5, v3, v4, vcc_lo
	v_mad_u64_u32 v[7:8], null, v6, s21, v[5:6]
	v_mov_b32_e32 v8, 0
	s_delay_alu instid0(VALU_DEP_1) | instskip(NEXT) | instid1(VALU_DEP_1)
	v_lshlrev_b64 v[5:6], 2, v[7:8]
	v_add_co_u32 v5, vcc_lo, s8, v5
	s_delay_alu instid0(VALU_DEP_2)
	v_add_co_ci_u32_e32 v6, vcc_lo, s9, v6, vcc_lo
	global_load_b32 v6, v[5:6], off
.LBB2_63:
	s_or_b32 exec_lo, exec_lo, s1
	v_lshlrev_b32_e32 v5, 2, v3
	s_cmp_lt_i32 s21, 1
	s_delay_alu instid0(VALU_DEP_1)
	v_mad_u32_u24 v5, v4, 36, v5
	s_waitcnt vmcnt(0)
	ds_store_b32 v5, v6
	s_waitcnt lgkmcnt(0)
	s_waitcnt_vscnt null, 0x0
	buffer_gl0_inv
	s_cbranch_scc1 .LBB2_83
; %bb.64:
	v_cvt_f64_f32_e32 v[6:7], v11
	v_or_b32_e32 v8, v3, v4
	v_mul_u32_u24_e32 v9, 9, v4
	s_cmp_eq_u64 s[12:13], 8
	v_cmp_eq_u32_e64 s1, 0, v4
	s_cselect_b32 vcc_lo, -1, 0
	v_cmp_eq_u32_e64 s2, 0, v8
	s_mov_b32 s3, 0
	v_dual_cndmask_b32 v2, v7, v2 :: v_dual_cndmask_b32 v1, v6, v1
	v_lshlrev_b32_e32 v6, 2, v9
.LBB2_65:                               ; =>This Inner Loop Header: Depth=1
	s_lshl_b32 s4, s3, 2
	s_mul_i32 s5, s3, 36
	s_and_not1_b32 vcc_lo, exec_lo, s34
	s_add_i32 s4, s5, s4
	s_delay_alu instid0(SALU_CYCLE_1)
	v_mov_b32_e32 v7, s4
	s_waitcnt lgkmcnt(0)
	ds_load_b32 v8, v7
	s_cbranch_vccnz .LBB2_69
; %bb.66:                               ;   in Loop: Header=BB2_65 Depth=1
	s_waitcnt lgkmcnt(0)
	v_cmp_gt_f32_e32 vcc_lo, 0, v8
	buffer_gl0_inv
	v_cndmask_b32_e64 v7, v8, -v8, vcc_lo
	s_delay_alu instid0(VALU_DEP_1) | instskip(NEXT) | instid1(VALU_DEP_1)
	v_cvt_f64_f32_e32 v[11:12], v7
	v_cmp_ge_f64_e32 vcc_lo, v[1:2], v[11:12]
	v_cndmask_b32_e32 v7, v8, v10, vcc_lo
	s_and_saveexec_b32 s5, s2
	s_cbranch_execz .LBB2_68
; %bb.67:                               ;   in Loop: Header=BB2_65 Depth=1
	v_mov_b32_e32 v9, s4
	ds_store_b32 v9, v7
.LBB2_68:                               ;   in Loop: Header=BB2_65 Depth=1
	s_or_b32 exec_lo, exec_lo, s5
	s_mov_b32 s5, -1
	s_mov_b32 s6, 0
	s_cbranch_execz .LBB2_70
	s_branch .LBB2_71
.LBB2_69:                               ;   in Loop: Header=BB2_65 Depth=1
	s_mov_b32 s5, 0
                                        ; implicit-def: $vgpr7
	s_mov_b32 s6, 0
.LBB2_70:                               ;   in Loop: Header=BB2_65 Depth=1
	s_waitcnt lgkmcnt(0)
	v_cmp_neq_f32_e64 s5, 0, v8
	v_mov_b32_e32 v7, v8
	s_mov_b32 s6, -1
.LBB2_71:                               ;   in Loop: Header=BB2_65 Depth=1
	s_delay_alu instid0(VALU_DEP_2)
	s_and_not1_b32 vcc_lo, exec_lo, s5
                                        ; implicit-def: $sgpr5
	s_cbranch_vccz .LBB2_74
; %bb.72:                               ;   in Loop: Header=BB2_65 Depth=1
	s_and_not1_b32 vcc_lo, exec_lo, s6
	s_cbranch_vccz .LBB2_80
.LBB2_73:                               ;   in Loop: Header=BB2_65 Depth=1
	s_cmp_eq_u32 s5, s21
	s_cbranch_scc0 .LBB2_81
	s_branch .LBB2_83
.LBB2_74:                               ;   in Loop: Header=BB2_65 Depth=1
	s_add_i32 s5, s3, 1
	s_mov_b32 s6, exec_lo
	s_waitcnt lgkmcnt(0)
	v_add_nc_u32_e32 v8, s5, v3
	s_delay_alu instid0(VALU_DEP_1)
	v_cmpx_gt_i32_e64 s21, v8
	s_cbranch_execz .LBB2_79
; %bb.75:                               ;   in Loop: Header=BB2_65 Depth=1
	v_lshl_add_u32 v8, v3, 2, s4
	ds_load_b32 v9, v8 offset:4
	s_waitcnt lgkmcnt(0)
	buffer_gl0_inv
	v_div_scale_f32 v11, null, v7, v7, v9
	s_delay_alu instid0(VALU_DEP_1) | instskip(SKIP_2) | instid1(VALU_DEP_1)
	v_rcp_f32_e32 v12, v11
	s_waitcnt_depctr 0xfff
	v_fma_f32 v13, -v11, v12, 1.0
	v_fmac_f32_e32 v12, v13, v12
	v_div_scale_f32 v13, vcc_lo, v9, v7, v9
	s_delay_alu instid0(VALU_DEP_1) | instskip(NEXT) | instid1(VALU_DEP_1)
	v_mul_f32_e32 v14, v13, v12
	v_fma_f32 v15, -v11, v14, v13
	s_delay_alu instid0(VALU_DEP_1) | instskip(NEXT) | instid1(VALU_DEP_1)
	v_fmac_f32_e32 v14, v15, v12
	v_fma_f32 v11, -v11, v14, v13
	s_delay_alu instid0(VALU_DEP_1) | instskip(NEXT) | instid1(VALU_DEP_1)
	v_div_fmas_f32 v11, v11, v12, v14
	v_div_fixup_f32 v7, v11, v7, v9
	s_and_saveexec_b32 s7, s1
	s_cbranch_execz .LBB2_77
; %bb.76:                               ;   in Loop: Header=BB2_65 Depth=1
	ds_store_b32 v8, v7 offset:4
.LBB2_77:                               ;   in Loop: Header=BB2_65 Depth=1
	s_or_b32 exec_lo, exec_lo, s7
	v_add_nc_u32_e32 v9, s5, v4
	s_delay_alu instid0(VALU_DEP_1)
	v_cmp_gt_i32_e32 vcc_lo, s21, v9
	s_and_b32 exec_lo, exec_lo, vcc_lo
	s_cbranch_execz .LBB2_79
; %bb.78:                               ;   in Loop: Header=BB2_65 Depth=1
	v_add_nc_u32_e32 v9, s4, v6
	v_add_nc_u32_e32 v8, v8, v6
	ds_load_b32 v9, v9 offset:36
	ds_load_b32 v11, v8 offset:40
	s_waitcnt lgkmcnt(0)
	v_fma_f32 v7, -v7, v9, v11
	ds_store_b32 v8, v7 offset:40
.LBB2_79:                               ;   in Loop: Header=BB2_65 Depth=1
	s_or_b32 exec_lo, exec_lo, s6
	s_cbranch_execnz .LBB2_73
.LBB2_80:                               ;   in Loop: Header=BB2_65 Depth=1
	s_add_i32 s5, s3, 1
	s_mov_b32 s19, -1
	s_cmp_eq_u32 s5, s21
	s_cbranch_scc1 .LBB2_83
.LBB2_81:                               ;   in Loop: Header=BB2_65 Depth=1
	s_mov_b32 s3, s5
	s_branch .LBB2_65
.LBB2_82:
	s_mov_b32 s19, -1
	s_branch .LBB2_110
.LBB2_83:
	s_waitcnt lgkmcnt(0)
	buffer_gl0_inv
	s_and_saveexec_b32 s1, s0
	s_cbranch_execz .LBB2_85
; %bb.84:
	s_cmp_eq_u32 s26, 0
	s_cselect_b32 vcc_lo, -1, 0
	v_cndmask_b32_e32 v1, v4, v3, vcc_lo
	s_delay_alu instid0(VALU_DEP_1) | instskip(SKIP_4) | instid1(VALU_DEP_1)
	v_mad_u64_u32 v[6:7], null, s24, s21, v[1:2]
	v_cndmask_b32_e32 v1, v3, v4, vcc_lo
	ds_load_b32 v4, v5
	v_mad_u64_u32 v[2:3], null, v6, s21, v[1:2]
	v_mov_b32_e32 v3, 0
	v_lshlrev_b64 v[1:2], 2, v[2:3]
	s_delay_alu instid0(VALU_DEP_1) | instskip(NEXT) | instid1(VALU_DEP_2)
	v_add_co_u32 v1, vcc_lo, s8, v1
	v_add_co_ci_u32_e32 v2, vcc_lo, s9, v2, vcc_lo
	s_waitcnt lgkmcnt(0)
	global_store_b32 v[1:2], v4, off
.LBB2_85:
	s_or_b32 exec_lo, exec_lo, s1
.LBB2_86:
	s_add_i32 s1, s24, 1
	s_delay_alu instid0(SALU_CYCLE_1)
	s_cmp_ge_i32 s1, s33
	s_cbranch_scc1 .LBB2_110
; %bb.87:
	v_and_b32_e32 v3, 0x3ff, v0
	v_bfe_u32 v6, v0, 10, 10
	s_cmp_eq_u32 s26, 0
	v_mov_b32_e32 v11, 0
	s_cselect_b32 vcc_lo, -1, 0
	v_lshlrev_b32_e32 v2, 2, v3
	v_mul_u32_u24_e32 v4, 36, v6
	s_cmp_gt_i32 s21, 0
	v_max_u32_e32 v5, v3, v6
	v_lshlrev_b32_e32 v8, 2, v6
	s_cselect_b32 s2, -1, 0
	v_add3_u32 v7, v4, v2, 0x120
	v_mul_u32_u24_e32 v4, 36, v3
	s_add_i32 s4, s21, -1
	s_and_b32 s3, s21, 3
	s_cmp_gt_u32 s4, 2
	v_dual_cndmask_b32 v1, v6, v3 :: v_dual_cndmask_b32 v2, v3, v6
	v_cmp_gt_u32_e64 s0, s21, v5
	s_cselect_b32 s4, -1, 0
	s_and_b32 s5, s21, 0x7ffffffc
	v_mad_u32_u24 v9, v3, 36, 0x120
	v_add_nc_u32_e32 v3, 4, v8
	v_add3_u32 v10, v4, v8, 0x124
	s_cmp_lg_u32 s3, 0
	s_cselect_b32 s6, -1, 0
	s_branch .LBB2_89
.LBB2_88:                               ;   in Loop: Header=BB2_89 Depth=1
	s_or_b32 exec_lo, exec_lo, s7
	s_add_i32 s1, s1, 1
	s_delay_alu instid0(SALU_CYCLE_1)
	s_cmp_lt_i32 s1, s33
	s_cbranch_scc0 .LBB2_110
.LBB2_89:                               ; =>This Loop Header: Depth=1
                                        ;     Child Loop BB2_95 Depth 2
                                        ;     Child Loop BB2_106 Depth 2
	v_mov_b32_e32 v4, 0
	s_waitcnt lgkmcnt(0)
	s_waitcnt_vscnt null, 0x0
	buffer_gl0_inv
	s_and_saveexec_b32 s7, s0
	s_cbranch_execz .LBB2_91
; %bb.90:                               ;   in Loop: Header=BB2_89 Depth=1
	v_mad_u64_u32 v[4:5], null, s1, s21, v[1:2]
	s_delay_alu instid0(VALU_DEP_1) | instskip(SKIP_1) | instid1(VALU_DEP_1)
	v_mad_u64_u32 v[12:13], null, v4, s21, v[2:3]
	v_mov_b32_e32 v13, v11
	v_lshlrev_b64 v[4:5], 2, v[12:13]
	s_delay_alu instid0(VALU_DEP_1) | instskip(NEXT) | instid1(VALU_DEP_2)
	v_add_co_u32 v4, vcc_lo, s8, v4
	v_add_co_ci_u32_e32 v5, vcc_lo, s9, v5, vcc_lo
	global_load_b32 v4, v[4:5], off
.LBB2_91:                               ;   in Loop: Header=BB2_89 Depth=1
	s_or_b32 exec_lo, exec_lo, s7
	s_delay_alu instid0(SALU_CYCLE_1)
	s_and_not1_b32 vcc_lo, exec_lo, s2
	s_waitcnt vmcnt(0)
	ds_store_b32 v7, v4
	s_waitcnt lgkmcnt(0)
	buffer_gl0_inv
	s_cbranch_vccnz .LBB2_108
; %bb.92:                               ;   in Loop: Header=BB2_89 Depth=1
	s_and_not1_b32 vcc_lo, exec_lo, s4
	s_mov_b32 s11, 0
	s_cbranch_vccnz .LBB2_103
; %bb.93:                               ;   in Loop: Header=BB2_89 Depth=1
	v_mov_b32_e32 v4, v9
	s_mov_b32 s7, 0
	s_mov_b32 s10, 4
	s_branch .LBB2_95
.LBB2_94:                               ;   in Loop: Header=BB2_95 Depth=2
	s_or_b32 exec_lo, exec_lo, s11
	v_add_nc_u32_e32 v4, 16, v4
	s_add_i32 s7, s7, 4
	s_addk_i32 s10, 0xa0
	s_cmp_eq_u32 s5, s7
	s_mov_b32 s11, s5
	s_cbranch_scc1 .LBB2_103
.LBB2_95:                               ;   Parent Loop BB2_89 Depth=1
                                        ; =>  This Inner Loop Header: Depth=2
	v_add_nc_u32_e32 v13, s7, v6
	v_add_nc_u32_e32 v12, s10, v8
	s_delay_alu instid0(VALU_DEP_2) | instskip(NEXT) | instid1(VALU_DEP_1)
	v_add_nc_u32_e32 v5, 1, v13
	v_cmp_gt_i32_e32 vcc_lo, s21, v5
	v_add_nc_u32_e32 v5, v4, v8
	s_and_saveexec_b32 s11, vcc_lo
	s_cbranch_execz .LBB2_97
; %bb.96:                               ;   in Loop: Header=BB2_95 Depth=2
	ds_load_b32 v14, v12
	ds_load_b32 v15, v4
	ds_load_b32 v16, v5 offset:4
	s_waitcnt lgkmcnt(0)
	v_fma_f32 v14, -v14, v15, v16
	ds_store_b32 v5, v14 offset:4
.LBB2_97:                               ;   in Loop: Header=BB2_95 Depth=2
	s_or_b32 exec_lo, exec_lo, s11
	v_add_nc_u32_e32 v14, 2, v13
	s_mov_b32 s11, exec_lo
	s_delay_alu instid0(VALU_DEP_1)
	v_cmpx_gt_i32_e64 s21, v14
	s_cbranch_execz .LBB2_99
; %bb.98:                               ;   in Loop: Header=BB2_95 Depth=2
	ds_load_b32 v14, v12 offset:40
	ds_load_b32 v15, v4 offset:4
	;; [unrolled: 1-line block ×3, first 2 shown]
	s_waitcnt lgkmcnt(0)
	v_fma_f32 v14, -v14, v15, v16
	ds_store_b32 v5, v14 offset:8
.LBB2_99:                               ;   in Loop: Header=BB2_95 Depth=2
	s_or_b32 exec_lo, exec_lo, s11
	v_add_nc_u32_e32 v14, 3, v13
	s_mov_b32 s11, exec_lo
	s_delay_alu instid0(VALU_DEP_1)
	v_cmpx_gt_i32_e64 s21, v14
	s_cbranch_execz .LBB2_101
; %bb.100:                              ;   in Loop: Header=BB2_95 Depth=2
	ds_load_b32 v14, v12 offset:80
	ds_load_b32 v15, v4 offset:8
	;; [unrolled: 1-line block ×3, first 2 shown]
	s_waitcnt lgkmcnt(0)
	v_fma_f32 v14, -v14, v15, v16
	ds_store_b32 v5, v14 offset:12
.LBB2_101:                              ;   in Loop: Header=BB2_95 Depth=2
	s_or_b32 exec_lo, exec_lo, s11
	v_add_nc_u32_e32 v13, 4, v13
	s_mov_b32 s11, exec_lo
	s_delay_alu instid0(VALU_DEP_1)
	v_cmpx_gt_i32_e64 s21, v13
	s_cbranch_execz .LBB2_94
; %bb.102:                              ;   in Loop: Header=BB2_95 Depth=2
	ds_load_b32 v12, v12 offset:120
	ds_load_b32 v13, v4 offset:12
	;; [unrolled: 1-line block ×3, first 2 shown]
	s_waitcnt lgkmcnt(0)
	v_fma_f32 v12, -v12, v13, v14
	ds_store_b32 v5, v12 offset:16
	s_branch .LBB2_94
.LBB2_103:                              ;   in Loop: Header=BB2_89 Depth=1
	s_and_not1_b32 vcc_lo, exec_lo, s6
	s_cbranch_vccnz .LBB2_108
; %bb.104:                              ;   in Loop: Header=BB2_89 Depth=1
	v_mad_u64_u32 v[4:5], null, s11, 40, v[3:4]
	s_lshl_b32 s7, s11, 2
	v_add_nc_u32_e32 v5, s11, v6
	v_add_nc_u32_e32 v12, s7, v10
	v_add_nc_u32_e32 v13, s7, v9
	s_mov_b32 s7, s3
	s_branch .LBB2_106
	.p2align	6
.LBB2_105:                              ;   in Loop: Header=BB2_106 Depth=2
	s_or_b32 exec_lo, exec_lo, s10
	v_add_nc_u32_e32 v4, 40, v4
	v_add_nc_u32_e32 v12, 4, v12
	;; [unrolled: 1-line block ×3, first 2 shown]
	s_add_i32 s7, s7, -1
	s_delay_alu instid0(SALU_CYCLE_1)
	s_cmp_lg_u32 s7, 0
	s_cbranch_scc0 .LBB2_108
.LBB2_106:                              ;   Parent Loop BB2_89 Depth=1
                                        ; =>  This Inner Loop Header: Depth=2
	v_add_nc_u32_e32 v5, 1, v5
	s_mov_b32 s10, exec_lo
	s_delay_alu instid0(VALU_DEP_1)
	v_cmpx_gt_i32_e64 s21, v5
	s_cbranch_execz .LBB2_105
; %bb.107:                              ;   in Loop: Header=BB2_106 Depth=2
	ds_load_b32 v14, v4
	ds_load_b32 v15, v13
	ds_load_b32 v16, v12
	s_waitcnt lgkmcnt(0)
	v_fma_f32 v14, -v14, v15, v16
	ds_store_b32 v12, v14
	s_branch .LBB2_105
.LBB2_108:                              ;   in Loop: Header=BB2_89 Depth=1
	s_waitcnt lgkmcnt(0)
	buffer_gl0_inv
	s_and_saveexec_b32 s7, s0
	s_cbranch_execz .LBB2_88
; %bb.109:                              ;   in Loop: Header=BB2_89 Depth=1
	v_mad_u64_u32 v[4:5], null, s1, s21, v[1:2]
	ds_load_b32 v14, v7
	v_mad_u64_u32 v[12:13], null, v4, s21, v[2:3]
	v_mov_b32_e32 v13, v11
	s_delay_alu instid0(VALU_DEP_1) | instskip(NEXT) | instid1(VALU_DEP_1)
	v_lshlrev_b64 v[4:5], 2, v[12:13]
	v_add_co_u32 v4, vcc_lo, s8, v4
	s_delay_alu instid0(VALU_DEP_2)
	v_add_co_ci_u32_e32 v5, vcc_lo, s9, v5, vcc_lo
	s_waitcnt lgkmcnt(0)
	global_store_b32 v[4:5], v14, off
	s_branch .LBB2_88
.LBB2_110:
	s_waitcnt vmcnt(0)
	v_and_b32_e32 v1, 0x3ff, v0
	v_bfe_u32 v0, v0, 10, 10
	s_mov_b32 s0, exec_lo
	s_delay_alu instid0(VALU_DEP_1) | instskip(NEXT) | instid1(VALU_DEP_1)
	v_or_b32_e32 v0, v1, v0
	v_cmpx_eq_u32_e32 0, v0
	s_cbranch_execz .LBB2_114
; %bb.111:
	v_dual_mov_b32 v0, 0 :: v_dual_mov_b32 v1, 1
	s_add_u32 s0, s16, s22
	s_addc_u32 s1, s17, s23
	s_and_not1_b32 vcc_lo, exec_lo, s19
	s_waitcnt_vscnt null, 0x0
	global_store_b32 v0, v1, s[0:1]
	s_cbranch_vccnz .LBB2_114
; %bb.112:
	v_mbcnt_lo_u32_b32 v0, exec_lo, 0
	s_delay_alu instid0(VALU_DEP_1)
	v_cmp_eq_u32_e32 vcc_lo, 0, v0
	s_and_b32 exec_lo, exec_lo, vcc_lo
	s_cbranch_execz .LBB2_114
; %bb.113:
	s_add_i32 s0, s18, s20
	s_delay_alu instid0(SALU_CYCLE_1)
	v_dual_mov_b32 v0, 0 :: v_dual_mov_b32 v1, s0
	global_atomic_min_i32 v0, v1, s[14:15]
.LBB2_114:
	s_nop 0
	s_sendmsg sendmsg(MSG_DEALLOC_VGPRS)
	s_endpgm
	.section	.rodata,"a",@progbits
	.p2align	6, 0x0
	.amdhsa_kernel _ZN9rocsparseL11bsrilu0_2_8ILj64ELj64ELj8EfEEv20rocsparse_direction_iPKiS3_PT2_S3_iPiS3_S6_21rocsparse_index_base_imNS_24const_host_device_scalarIfEENS8_IdEENS8_IS4_EEb
		.amdhsa_group_segment_fixed_size 576
		.amdhsa_private_segment_fixed_size 0
		.amdhsa_kernarg_size 376
		.amdhsa_user_sgpr_count 15
		.amdhsa_user_sgpr_dispatch_ptr 0
		.amdhsa_user_sgpr_queue_ptr 0
		.amdhsa_user_sgpr_kernarg_segment_ptr 1
		.amdhsa_user_sgpr_dispatch_id 0
		.amdhsa_user_sgpr_private_segment_size 0
		.amdhsa_wavefront_size32 1
		.amdhsa_uses_dynamic_stack 0
		.amdhsa_enable_private_segment 0
		.amdhsa_system_sgpr_workgroup_id_x 1
		.amdhsa_system_sgpr_workgroup_id_y 0
		.amdhsa_system_sgpr_workgroup_id_z 0
		.amdhsa_system_sgpr_workgroup_info 0
		.amdhsa_system_vgpr_workitem_id 1
		.amdhsa_next_free_vgpr 33
		.amdhsa_next_free_sgpr 44
		.amdhsa_reserve_vcc 1
		.amdhsa_float_round_mode_32 0
		.amdhsa_float_round_mode_16_64 0
		.amdhsa_float_denorm_mode_32 3
		.amdhsa_float_denorm_mode_16_64 3
		.amdhsa_dx10_clamp 1
		.amdhsa_ieee_mode 1
		.amdhsa_fp16_overflow 0
		.amdhsa_workgroup_processor_mode 1
		.amdhsa_memory_ordered 1
		.amdhsa_forward_progress 0
		.amdhsa_shared_vgpr_count 0
		.amdhsa_exception_fp_ieee_invalid_op 0
		.amdhsa_exception_fp_denorm_src 0
		.amdhsa_exception_fp_ieee_div_zero 0
		.amdhsa_exception_fp_ieee_overflow 0
		.amdhsa_exception_fp_ieee_underflow 0
		.amdhsa_exception_fp_ieee_inexact 0
		.amdhsa_exception_int_div_zero 0
	.end_amdhsa_kernel
	.section	.text._ZN9rocsparseL11bsrilu0_2_8ILj64ELj64ELj8EfEEv20rocsparse_direction_iPKiS3_PT2_S3_iPiS3_S6_21rocsparse_index_base_imNS_24const_host_device_scalarIfEENS8_IdEENS8_IS4_EEb,"axG",@progbits,_ZN9rocsparseL11bsrilu0_2_8ILj64ELj64ELj8EfEEv20rocsparse_direction_iPKiS3_PT2_S3_iPiS3_S6_21rocsparse_index_base_imNS_24const_host_device_scalarIfEENS8_IdEENS8_IS4_EEb,comdat
.Lfunc_end2:
	.size	_ZN9rocsparseL11bsrilu0_2_8ILj64ELj64ELj8EfEEv20rocsparse_direction_iPKiS3_PT2_S3_iPiS3_S6_21rocsparse_index_base_imNS_24const_host_device_scalarIfEENS8_IdEENS8_IS4_EEb, .Lfunc_end2-_ZN9rocsparseL11bsrilu0_2_8ILj64ELj64ELj8EfEEv20rocsparse_direction_iPKiS3_PT2_S3_iPiS3_S6_21rocsparse_index_base_imNS_24const_host_device_scalarIfEENS8_IdEENS8_IS4_EEb
                                        ; -- End function
	.section	.AMDGPU.csdata,"",@progbits
; Kernel info:
; codeLenInByte = 4380
; NumSgprs: 46
; NumVgprs: 33
; ScratchSize: 0
; MemoryBound: 0
; FloatMode: 240
; IeeeMode: 1
; LDSByteSize: 576 bytes/workgroup (compile time only)
; SGPRBlocks: 5
; VGPRBlocks: 4
; NumSGPRsForWavesPerEU: 46
; NumVGPRsForWavesPerEU: 33
; Occupancy: 16
; WaveLimiterHint : 1
; COMPUTE_PGM_RSRC2:SCRATCH_EN: 0
; COMPUTE_PGM_RSRC2:USER_SGPR: 15
; COMPUTE_PGM_RSRC2:TRAP_HANDLER: 0
; COMPUTE_PGM_RSRC2:TGID_X_EN: 1
; COMPUTE_PGM_RSRC2:TGID_Y_EN: 0
; COMPUTE_PGM_RSRC2:TGID_Z_EN: 0
; COMPUTE_PGM_RSRC2:TIDIG_COMP_CNT: 1
	.section	.text._ZN9rocsparseL12bsrilu0_9_32ILj64ELj64ELj16EfEEv20rocsparse_direction_iPKiS3_PT2_S3_iPiS3_S6_21rocsparse_index_base_imNS_24const_host_device_scalarIfEENS8_IdEENS8_IS4_EEb,"axG",@progbits,_ZN9rocsparseL12bsrilu0_9_32ILj64ELj64ELj16EfEEv20rocsparse_direction_iPKiS3_PT2_S3_iPiS3_S6_21rocsparse_index_base_imNS_24const_host_device_scalarIfEENS8_IdEENS8_IS4_EEb,comdat
	.globl	_ZN9rocsparseL12bsrilu0_9_32ILj64ELj64ELj16EfEEv20rocsparse_direction_iPKiS3_PT2_S3_iPiS3_S6_21rocsparse_index_base_imNS_24const_host_device_scalarIfEENS8_IdEENS8_IS4_EEb ; -- Begin function _ZN9rocsparseL12bsrilu0_9_32ILj64ELj64ELj16EfEEv20rocsparse_direction_iPKiS3_PT2_S3_iPiS3_S6_21rocsparse_index_base_imNS_24const_host_device_scalarIfEENS8_IdEENS8_IS4_EEb
	.p2align	8
	.type	_ZN9rocsparseL12bsrilu0_9_32ILj64ELj64ELj16EfEEv20rocsparse_direction_iPKiS3_PT2_S3_iPiS3_S6_21rocsparse_index_base_imNS_24const_host_device_scalarIfEENS8_IdEENS8_IS4_EEb,@function
_ZN9rocsparseL12bsrilu0_9_32ILj64ELj64ELj16EfEEv20rocsparse_direction_iPKiS3_PT2_S3_iPiS3_S6_21rocsparse_index_base_imNS_24const_host_device_scalarIfEENS8_IdEENS8_IS4_EEb: ; @_ZN9rocsparseL12bsrilu0_9_32ILj64ELj64ELj16EfEEv20rocsparse_direction_iPKiS3_PT2_S3_iPiS3_S6_21rocsparse_index_base_imNS_24const_host_device_scalarIfEENS8_IdEENS8_IS4_EEb
; %bb.0:
	s_clause 0x2
	s_load_b32 s3, s[0:1], 0x70
	s_load_b64 s[24:25], s[0:1], 0x48
	s_load_b256 s[16:23], s[0:1], 0x50
	s_mov_b32 s2, s15
	s_waitcnt lgkmcnt(0)
	s_bitcmp1_b32 s3, 0
	s_cselect_b32 s3, -1, 0
	s_cmp_lg_u32 s25, 0
	s_cselect_b32 s36, -1, 0
	s_cmp_eq_u32 s25, 0
	s_cselect_b32 s6, -1, 0
	s_delay_alu instid0(SALU_CYCLE_1) | instskip(SKIP_3) | instid1(SALU_CYCLE_1)
	s_and_b32 s4, s6, exec_lo
	s_cselect_b32 s4, 0, s20
	s_cselect_b32 s5, 0, s21
	s_or_b32 s3, s6, s3
	s_and_b32 vcc_lo, exec_lo, s3
	s_xor_b32 s3, s3, -1
	s_cbranch_vccnz .LBB3_2
; %bb.1:
	s_load_b32 s4, s[18:19], 0x0
	s_waitcnt lgkmcnt(0)
	v_mov_b32_e32 v13, s4
	s_mov_b64 s[4:5], s[20:21]
	s_branch .LBB3_3
.LBB3_2:
	v_cndmask_b32_e64 v13, s18, 0, s6
.LBB3_3:
	v_cndmask_b32_e64 v3, 0, 1, s3
	v_dual_mov_b32 v1, s4 :: v_dual_mov_b32 v2, s5
	s_and_not1_b32 vcc_lo, exec_lo, s3
	s_cbranch_vccnz .LBB3_5
; %bb.4:
	v_dual_mov_b32 v1, s20 :: v_dual_mov_b32 v2, s21
	flat_load_b64 v[1:2], v[1:2]
.LBB3_5:
	s_delay_alu instid0(VALU_DEP_2)
	v_cmp_ne_u32_e32 vcc_lo, 1, v3
	s_mov_b32 s3, 0
	s_cbranch_vccnz .LBB3_7
; %bb.6:
	s_load_b32 s4, s[22:23], 0x0
	s_waitcnt lgkmcnt(0)
	v_mov_b32_e32 v12, s4
	s_branch .LBB3_8
.LBB3_7:
	v_cndmask_b32_e64 v12, s22, 0, s6
.LBB3_8:
	s_clause 0x1
	s_load_b128 s[20:23], s[0:1], 0x30
	s_load_b64 s[18:19], s[0:1], 0x40
	s_lshl_b64 s[2:3], s[2:3], 2
	s_waitcnt lgkmcnt(0)
	s_add_u32 s2, s22, s2
	s_addc_u32 s3, s23, s3
	s_load_b32 s22, s[2:3], 0x0
	s_load_b256 s[8:15], s[0:1], 0x8
	s_waitcnt lgkmcnt(0)
	s_ashr_i32 s23, s22, 31
	s_delay_alu instid0(SALU_CYCLE_1) | instskip(NEXT) | instid1(SALU_CYCLE_1)
	s_lshl_b64 s[26:27], s[22:23], 2
	s_add_u32 s2, s14, s26
	s_addc_u32 s3, s15, s27
	s_load_b32 s28, s[2:3], 0x0
	s_waitcnt lgkmcnt(0)
	s_cmp_eq_u32 s28, -1
	s_cbranch_scc1 .LBB3_124
; %bb.9:
	s_add_u32 s2, s8, s26
	s_addc_u32 s3, s9, s27
	s_mov_b32 s23, 0
	s_load_b64 s[2:3], s[2:3], 0x0
	s_clause 0x1
	s_load_b64 s[30:31], s[0:1], 0x0
	s_load_b32 s25, s[0:1], 0x28
	s_waitcnt lgkmcnt(0)
	s_sub_i32 s34, s2, s24
	s_sub_i32 s33, s3, s24
	s_cmp_ge_i32 s34, s28
	s_cbranch_scc1 .LBB3_113
; %bb.10:
	v_bfe_u32 v14, v0, 10, 10
	v_dual_mov_b32 v24, 0 :: v_dual_and_b32 v3, 0x3ff, v0
	s_cmp_lg_u32 s30, 0
	s_movk_i32 s5, 0x8c
	s_delay_alu instid0(VALU_DEP_2) | instskip(NEXT) | instid1(VALU_DEP_2)
	v_lshlrev_b32_e32 v4, 4, v14
	v_lshlrev_b32_e32 v9, 2, v3
	s_cselect_b32 s29, -1, 0
	s_cmp_gt_i32 s25, 0
	v_cmp_gt_i32_e64 s0, s25, v3
	v_add3_u32 v4, v4, v3, s34
	s_cselect_b32 s37, -1, 0
	s_add_i32 s31, s31, 1
	s_cmp_lg_u32 s25, 1
	v_mad_u32_u24 v16, 0x44, v14, v9
	v_ashrrev_i32_e32 v5, 31, v4
	v_mad_u64_u32 v[7:8], null, s25, s34, v[3:4]
	s_cselect_b32 s38, -1, 0
	s_and_b32 s39, s25, 0x7ffffffe
	s_delay_alu instid0(VALU_DEP_2) | instskip(SKIP_3) | instid1(VALU_DEP_4)
	v_lshlrev_b64 v[5:6], 2, v[4:5]
	s_bitcmp1_b32 s25, 0
	v_cmp_le_i32_e64 s1, s25, v3
	v_cmp_gt_i32_e64 s2, s25, v14
	v_mul_lo_u32 v17, s25, v7
	v_cmp_eq_u32_e64 s3, 0, v14
	v_add_co_u32 v5, vcc_lo, s10, v5
	v_add_nc_u32_e32 v15, 1, v14
	v_cmp_gt_i32_e64 s4, s33, v4
	v_add_co_ci_u32_e32 v6, vcc_lo, s11, v6, vcc_lo
	s_cselect_b32 s40, -1, 0
	s_add_u32 s8, s8, 4
	v_mul_u32_u24_e32 v18, 0x44, v14
	v_add_nc_u32_e32 v19, 0x440, v16
	v_add_nc_u32_e32 v20, 0x484, v16
	v_mad_u32_u24 v7, 0x44, v14, 0x44
	v_mad_u32_u24 v21, 0x44, v14, s5
	v_add_nc_u32_e32 v22, 0x4c8, v16
	v_add_nc_u32_e32 v8, 0x484, v9
	;; [unrolled: 1-line block ×3, first 2 shown]
	s_addc_u32 s9, s9, 0
	s_add_u32 s41, s10, 0x100
	s_addc_u32 s42, s11, 0
	s_mul_i32 s43, s25, s25
	s_lshl_b32 s44, s25, 4
	s_branch .LBB3_13
.LBB3_11:                               ;   in Loop: Header=BB3_13 Depth=1
	s_mov_b32 s23, -1
.LBB3_12:                               ;   in Loop: Header=BB3_13 Depth=1
	s_add_i32 s34, s34, 1
	v_add_nc_u32_e32 v17, s43, v17
	s_cmp_lt_i32 s34, s28
	s_cselect_b32 s6, -1, 0
	s_delay_alu instid0(SALU_CYCLE_1) | instskip(NEXT) | instid1(SALU_CYCLE_1)
	s_and_b32 s5, s5, s6
	s_and_b32 vcc_lo, exec_lo, s5
	s_cbranch_vccz .LBB3_113
.LBB3_13:                               ; =>This Loop Header: Depth=1
                                        ;     Child Loop BB3_16 Depth 2
                                        ;       Child Loop BB3_19 Depth 3
                                        ;     Child Loop BB3_25 Depth 2
                                        ;     Child Loop BB3_29 Depth 2
                                        ;       Child Loop BB3_32 Depth 3
                                        ;     Child Loop BB3_40 Depth 2
                                        ;       Child Loop BB3_43 Depth 3
                                        ;         Child Loop BB3_47 Depth 4
                                        ;       Child Loop BB3_51 Depth 3
                                        ;         Child Loop BB3_55 Depth 4
                                        ;     Child Loop BB3_60 Depth 2
                                        ;       Child Loop BB3_64 Depth 3
                                        ;     Child Loop BB3_69 Depth 2
                                        ;       Child Loop BB3_72 Depth 3
	;; [unrolled: 2-line block ×3, first 2 shown]
                                        ;       Child Loop BB3_95 Depth 3
                                        ;         Child Loop BB3_98 Depth 4
                                        ;       Child Loop BB3_104 Depth 3
                                        ;         Child Loop BB3_107 Depth 4
                                        ;           Child Loop BB3_108 Depth 5
	s_ashr_i32 s35, s34, 31
	s_delay_alu instid0(SALU_CYCLE_1) | instskip(NEXT) | instid1(SALU_CYCLE_1)
	s_lshl_b64 s[6:7], s[34:35], 2
	s_add_u32 s6, s10, s6
	s_addc_u32 s7, s11, s7
	global_load_b32 v9, v24, s[6:7]
	s_waitcnt vmcnt(0)
	v_readfirstlane_b32 s5, v9
	s_and_saveexec_b32 s6, s0
	s_cbranch_execz .LBB3_23
; %bb.14:                               ;   in Loop: Header=BB3_13 Depth=1
	v_dual_mov_b32 v25, v19 :: v_dual_mov_b32 v26, v17
	v_mov_b32_e32 v9, v3
	s_mul_i32 s7, s34, s25
	s_mov_b32 s35, 0
	s_set_inst_prefetch_distance 0x1
	s_branch .LBB3_16
	.p2align	6
.LBB3_15:                               ;   in Loop: Header=BB3_16 Depth=2
	s_or_b32 exec_lo, exec_lo, s45
	v_add_nc_u32_e32 v9, 16, v9
	v_add_nc_u32_e32 v26, s44, v26
	;; [unrolled: 1-line block ×3, first 2 shown]
	s_delay_alu instid0(VALU_DEP_3) | instskip(SKIP_1) | instid1(SALU_CYCLE_1)
	v_cmp_le_i32_e32 vcc_lo, s25, v9
	s_or_b32 s35, vcc_lo, s35
	s_and_not1_b32 exec_lo, exec_lo, s35
	s_cbranch_execz .LBB3_23
.LBB3_16:                               ;   Parent Loop BB3_13 Depth=1
                                        ; =>  This Loop Header: Depth=2
                                        ;       Child Loop BB3_19 Depth 3
	s_and_saveexec_b32 s45, s2
	s_cbranch_execz .LBB3_15
; %bb.17:                               ;   in Loop: Header=BB3_16 Depth=2
	v_dual_mov_b32 v27, v25 :: v_dual_mov_b32 v28, v14
	s_mov_b32 s46, 0
	s_branch .LBB3_19
	.p2align	6
.LBB3_18:                               ;   in Loop: Header=BB3_19 Depth=3
	s_delay_alu instid0(VALU_DEP_1) | instskip(SKIP_1) | instid1(VALU_DEP_2)
	v_ashrrev_i32_e32 v11, 31, v10
	v_add_nc_u32_e32 v28, 4, v28
	v_lshlrev_b64 v[10:11], 2, v[10:11]
	s_delay_alu instid0(VALU_DEP_1) | instskip(NEXT) | instid1(VALU_DEP_2)
	v_add_co_u32 v10, vcc_lo, s12, v10
	v_add_co_ci_u32_e32 v11, vcc_lo, s13, v11, vcc_lo
	s_delay_alu instid0(VALU_DEP_4)
	v_cmp_le_i32_e32 vcc_lo, s25, v28
	global_load_b32 v10, v[10:11], off
	s_or_b32 s46, vcc_lo, s46
	s_waitcnt vmcnt(0)
	ds_store_b32 v27, v10
	v_add_nc_u32_e32 v27, 0x110, v27
	s_and_not1_b32 exec_lo, exec_lo, s46
	s_cbranch_execz .LBB3_15
.LBB3_19:                               ;   Parent Loop BB3_13 Depth=1
                                        ;     Parent Loop BB3_16 Depth=2
                                        ; =>    This Inner Loop Header: Depth=3
	s_and_b32 vcc_lo, exec_lo, s29
	s_cbranch_vccz .LBB3_21
; %bb.20:                               ;   in Loop: Header=BB3_19 Depth=3
	v_add_nc_u32_e32 v29, s7, v28
	s_delay_alu instid0(VALU_DEP_1)
	v_mad_u64_u32 v[10:11], null, v29, s25, v[9:10]
	s_cbranch_execnz .LBB3_18
	s_branch .LBB3_22
	.p2align	6
.LBB3_21:                               ;   in Loop: Header=BB3_19 Depth=3
                                        ; implicit-def: $vgpr10
.LBB3_22:                               ;   in Loop: Header=BB3_19 Depth=3
	v_add_nc_u32_e32 v10, v26, v28
	s_branch .LBB3_18
.LBB3_23:                               ;   in Loop: Header=BB3_13 Depth=1
	s_set_inst_prefetch_distance 0x2
	s_or_b32 exec_lo, exec_lo, s6
	s_sub_i32 s6, s5, s24
	s_delay_alu instid0(SALU_CYCLE_1) | instskip(NEXT) | instid1(SALU_CYCLE_1)
	s_ashr_i32 s7, s6, 31
	s_lshl_b64 s[6:7], s[6:7], 2
	s_delay_alu instid0(SALU_CYCLE_1)
	s_add_u32 s46, s14, s6
	s_addc_u32 s47, s15, s7
	global_load_b32 v9, v24, s[46:47]
	s_waitcnt vmcnt(0)
	v_cmp_eq_u32_e32 vcc_lo, -1, v9
	v_readfirstlane_b32 s35, v9
	v_cmp_ne_u32_e64 s5, -1, v9
	s_cbranch_vccnz .LBB3_11
; %bb.24:                               ;   in Loop: Header=BB3_13 Depth=1
	s_add_u32 s46, s8, s6
	s_addc_u32 s47, s9, s7
	s_add_u32 s6, s20, s6
	global_load_b32 v9, v24, s[46:47]
	s_addc_u32 s7, s21, s7
	s_waitcnt vmcnt(0)
	v_readfirstlane_b32 s45, v9
.LBB3_25:                               ;   Parent Loop BB3_13 Depth=1
                                        ; =>  This Inner Loop Header: Depth=2
	global_load_b32 v9, v24, s[6:7] glc
	s_waitcnt vmcnt(0)
	v_cmp_eq_u32_e32 vcc_lo, 0, v9
	s_cbranch_vccnz .LBB3_25
; %bb.26:                               ;   in Loop: Header=BB3_13 Depth=1
	s_waitcnt lgkmcnt(0)
	buffer_gl1_inv
	buffer_gl0_inv
	s_and_saveexec_b32 s6, s0
	s_cbranch_execz .LBB3_36
; %bb.27:                               ;   in Loop: Header=BB3_13 Depth=1
	s_mul_i32 s7, s35, s25
	s_mov_b32 s46, 0
	v_dual_mov_b32 v26, v16 :: v_dual_add_nc_u32 v9, s7, v3
	s_delay_alu instid0(VALU_DEP_1)
	v_mul_lo_u32 v25, s25, v9
	v_mov_b32_e32 v9, v3
	s_set_inst_prefetch_distance 0x1
	s_branch .LBB3_29
	.p2align	6
.LBB3_28:                               ;   in Loop: Header=BB3_29 Depth=2
	s_or_b32 exec_lo, exec_lo, s47
	v_add_nc_u32_e32 v9, 16, v9
	v_add_nc_u32_e32 v25, s44, v25
	;; [unrolled: 1-line block ×3, first 2 shown]
	s_delay_alu instid0(VALU_DEP_3) | instskip(SKIP_1) | instid1(SALU_CYCLE_1)
	v_cmp_le_i32_e32 vcc_lo, s25, v9
	s_or_b32 s46, vcc_lo, s46
	s_and_not1_b32 exec_lo, exec_lo, s46
	s_cbranch_execz .LBB3_36
.LBB3_29:                               ;   Parent Loop BB3_13 Depth=1
                                        ; =>  This Loop Header: Depth=2
                                        ;       Child Loop BB3_32 Depth 3
	s_and_saveexec_b32 s47, s2
	s_cbranch_execz .LBB3_28
; %bb.30:                               ;   in Loop: Header=BB3_29 Depth=2
	v_mov_b32_e32 v27, v26
	v_mov_b32_e32 v28, v14
	s_mov_b32 s48, 0
	s_branch .LBB3_32
	.p2align	6
.LBB3_31:                               ;   in Loop: Header=BB3_32 Depth=3
	s_delay_alu instid0(VALU_DEP_1) | instskip(SKIP_1) | instid1(VALU_DEP_2)
	v_ashrrev_i32_e32 v11, 31, v10
	v_add_nc_u32_e32 v28, 4, v28
	v_lshlrev_b64 v[10:11], 2, v[10:11]
	s_delay_alu instid0(VALU_DEP_1) | instskip(NEXT) | instid1(VALU_DEP_2)
	v_add_co_u32 v10, vcc_lo, s12, v10
	v_add_co_ci_u32_e32 v11, vcc_lo, s13, v11, vcc_lo
	s_delay_alu instid0(VALU_DEP_4)
	v_cmp_le_i32_e32 vcc_lo, s25, v28
	global_load_b32 v10, v[10:11], off
	s_or_b32 s48, vcc_lo, s48
	s_waitcnt vmcnt(0)
	ds_store_b32 v27, v10
	v_add_nc_u32_e32 v27, 0x110, v27
	s_and_not1_b32 exec_lo, exec_lo, s48
	s_cbranch_execz .LBB3_28
.LBB3_32:                               ;   Parent Loop BB3_13 Depth=1
                                        ;     Parent Loop BB3_29 Depth=2
                                        ; =>    This Inner Loop Header: Depth=3
	s_and_b32 vcc_lo, exec_lo, s29
	s_cbranch_vccz .LBB3_34
; %bb.33:                               ;   in Loop: Header=BB3_32 Depth=3
	v_add_nc_u32_e32 v29, s7, v28
	s_delay_alu instid0(VALU_DEP_1)
	v_mad_u64_u32 v[10:11], null, v29, s25, v[9:10]
	s_cbranch_execnz .LBB3_31
	s_branch .LBB3_35
	.p2align	6
.LBB3_34:                               ;   in Loop: Header=BB3_32 Depth=3
                                        ; implicit-def: $vgpr10
.LBB3_35:                               ;   in Loop: Header=BB3_32 Depth=3
	v_add_nc_u32_e32 v10, v25, v28
	s_branch .LBB3_31
.LBB3_36:                               ;   in Loop: Header=BB3_13 Depth=1
	s_set_inst_prefetch_distance 0x2
	s_or_b32 exec_lo, exec_lo, s6
	s_delay_alu instid0(SALU_CYCLE_1)
	s_and_not1_b32 vcc_lo, exec_lo, s37
	s_waitcnt lgkmcnt(0)
	buffer_gl0_inv
	s_cbranch_vccnz .LBB3_66
; %bb.37:                               ;   in Loop: Header=BB3_13 Depth=1
	s_and_not1_b32 vcc_lo, exec_lo, s38
	s_mov_b32 s6, 0
	s_cbranch_vccnz .LBB3_56
; %bb.38:                               ;   in Loop: Header=BB3_13 Depth=1
	v_dual_mov_b32 v9, v22 :: v_dual_mov_b32 v10, v21
	v_mov_b32_e32 v11, v7
	v_mov_b32_e32 v25, v20
	s_mov_b32 s7, 0
	s_branch .LBB3_40
.LBB3_39:                               ;   in Loop: Header=BB3_40 Depth=2
	s_or_b32 exec_lo, exec_lo, s48
	v_add_nc_u32_e32 v25, 0x88, v25
	v_add_nc_u32_e32 v11, 0x90, v11
	;; [unrolled: 1-line block ×4, first 2 shown]
	s_add_i32 s7, s7, 2
	s_mov_b32 s6, s39
	s_cmp_eq_u32 s7, s39
	s_waitcnt lgkmcnt(0)
	buffer_gl0_inv
	s_cbranch_scc1 .LBB3_56
.LBB3_40:                               ;   Parent Loop BB3_13 Depth=1
                                        ; =>  This Loop Header: Depth=2
                                        ;       Child Loop BB3_43 Depth 3
                                        ;         Child Loop BB3_47 Depth 4
                                        ;       Child Loop BB3_51 Depth 3
                                        ;         Child Loop BB3_55 Depth 4
	s_lshl_b32 s6, s7, 2
	s_mul_i32 s46, s7, 0x44
	s_delay_alu instid0(SALU_CYCLE_1)
	s_add_i32 s47, s46, s6
	s_and_saveexec_b32 s48, s0
	s_cbranch_execz .LBB3_48
; %bb.41:                               ;   in Loop: Header=BB3_40 Depth=2
	v_dual_mov_b32 v26, s47 :: v_dual_add_nc_u32 v27, s7, v15
	v_dual_mov_b32 v28, v25 :: v_dual_mov_b32 v29, v3
	s_mov_b32 s49, 0
	ds_load_b32 v26, v26
	v_cmp_gt_i32_e64 s6, s25, v27
	s_branch .LBB3_43
.LBB3_42:                               ;   in Loop: Header=BB3_43 Depth=3
	s_or_b32 exec_lo, exec_lo, s50
	v_add_nc_u32_e32 v29, 16, v29
	v_add_nc_u32_e32 v28, 64, v28
	s_delay_alu instid0(VALU_DEP_2) | instskip(SKIP_1) | instid1(SALU_CYCLE_1)
	v_cmp_le_i32_e32 vcc_lo, s25, v29
	s_or_b32 s49, vcc_lo, s49
	s_and_not1_b32 exec_lo, exec_lo, s49
	s_cbranch_execz .LBB3_48
.LBB3_43:                               ;   Parent Loop BB3_13 Depth=1
                                        ;     Parent Loop BB3_40 Depth=2
                                        ; =>    This Loop Header: Depth=3
                                        ;         Child Loop BB3_47 Depth 4
	v_lshl_add_u32 v31, v29, 2, s46
	ds_load_b32 v30, v31 offset:1088
	s_waitcnt lgkmcnt(0)
	buffer_gl0_inv
	v_div_scale_f32 v32, null, v26, v26, v30
	s_delay_alu instid0(VALU_DEP_1) | instskip(SKIP_2) | instid1(VALU_DEP_1)
	v_rcp_f32_e32 v33, v32
	s_waitcnt_depctr 0xfff
	v_fma_f32 v34, -v32, v33, 1.0
	v_fmac_f32_e32 v33, v34, v33
	v_div_scale_f32 v34, vcc_lo, v30, v26, v30
	s_delay_alu instid0(VALU_DEP_1) | instskip(NEXT) | instid1(VALU_DEP_1)
	v_mul_f32_e32 v35, v34, v33
	v_fma_f32 v36, -v32, v35, v34
	s_delay_alu instid0(VALU_DEP_1) | instskip(NEXT) | instid1(VALU_DEP_1)
	v_fmac_f32_e32 v35, v36, v33
	v_fma_f32 v32, -v32, v35, v34
	s_delay_alu instid0(VALU_DEP_1) | instskip(NEXT) | instid1(VALU_DEP_1)
	v_div_fmas_f32 v32, v32, v33, v35
	v_div_fixup_f32 v30, v32, v26, v30
	s_and_saveexec_b32 s50, s3
	s_cbranch_execz .LBB3_45
; %bb.44:                               ;   in Loop: Header=BB3_43 Depth=3
	v_add_nc_u32_e32 v31, 0x440, v31
	ds_store_b32 v31, v30
.LBB3_45:                               ;   in Loop: Header=BB3_43 Depth=3
	s_or_b32 exec_lo, exec_lo, s50
	s_and_saveexec_b32 s50, s6
	s_cbranch_execz .LBB3_42
; %bb.46:                               ;   in Loop: Header=BB3_43 Depth=3
	v_dual_mov_b32 v31, v11 :: v_dual_mov_b32 v32, v28
	v_mov_b32_e32 v33, v27
	s_mov_b32 s51, 0
	.p2align	6
.LBB3_47:                               ;   Parent Loop BB3_13 Depth=1
                                        ;     Parent Loop BB3_40 Depth=2
                                        ;       Parent Loop BB3_43 Depth=3
                                        ; =>      This Inner Loop Header: Depth=4
	ds_load_b32 v34, v31
	ds_load_b32 v35, v32
	v_add_nc_u32_e32 v33, 4, v33
	v_add_nc_u32_e32 v31, 0x110, v31
	s_delay_alu instid0(VALU_DEP_2)
	v_cmp_le_i32_e32 vcc_lo, s25, v33
	s_or_b32 s51, vcc_lo, s51
	s_waitcnt lgkmcnt(0)
	v_fma_f32 v34, -v30, v34, v35
	ds_store_b32 v32, v34
	v_add_nc_u32_e32 v32, 0x110, v32
	s_and_not1_b32 exec_lo, exec_lo, s51
	s_cbranch_execnz .LBB3_47
	s_branch .LBB3_42
.LBB3_48:                               ;   in Loop: Header=BB3_40 Depth=2
	s_or_b32 exec_lo, exec_lo, s48
	s_waitcnt lgkmcnt(0)
	buffer_gl0_inv
	s_and_saveexec_b32 s48, s0
	s_cbranch_execz .LBB3_39
; %bb.49:                               ;   in Loop: Header=BB3_40 Depth=2
	v_dual_mov_b32 v26, s47 :: v_dual_mov_b32 v29, v3
	v_add3_u32 v27, v15, s7, 1
	v_mov_b32_e32 v28, v9
	s_mov_b32 s47, 0
	ds_load_b32 v26, v26 offset:72
	v_cmp_gt_i32_e64 s6, s25, v27
	s_branch .LBB3_51
.LBB3_50:                               ;   in Loop: Header=BB3_51 Depth=3
	s_or_b32 exec_lo, exec_lo, s49
	v_add_nc_u32_e32 v29, 16, v29
	v_add_nc_u32_e32 v28, 64, v28
	s_delay_alu instid0(VALU_DEP_2) | instskip(SKIP_1) | instid1(SALU_CYCLE_1)
	v_cmp_le_i32_e32 vcc_lo, s25, v29
	s_or_b32 s47, vcc_lo, s47
	s_and_not1_b32 exec_lo, exec_lo, s47
	s_cbranch_execz .LBB3_39
.LBB3_51:                               ;   Parent Loop BB3_13 Depth=1
                                        ;     Parent Loop BB3_40 Depth=2
                                        ; =>    This Loop Header: Depth=3
                                        ;         Child Loop BB3_55 Depth 4
	v_lshl_add_u32 v31, v29, 2, s46
	ds_load_b32 v30, v31 offset:1156
	s_waitcnt lgkmcnt(0)
	buffer_gl0_inv
	v_div_scale_f32 v32, null, v26, v26, v30
	s_delay_alu instid0(VALU_DEP_1) | instskip(SKIP_2) | instid1(VALU_DEP_1)
	v_rcp_f32_e32 v33, v32
	s_waitcnt_depctr 0xfff
	v_fma_f32 v34, -v32, v33, 1.0
	v_fmac_f32_e32 v33, v34, v33
	v_div_scale_f32 v34, vcc_lo, v30, v26, v30
	s_delay_alu instid0(VALU_DEP_1) | instskip(NEXT) | instid1(VALU_DEP_1)
	v_mul_f32_e32 v35, v34, v33
	v_fma_f32 v36, -v32, v35, v34
	s_delay_alu instid0(VALU_DEP_1) | instskip(NEXT) | instid1(VALU_DEP_1)
	v_fmac_f32_e32 v35, v36, v33
	v_fma_f32 v32, -v32, v35, v34
	s_delay_alu instid0(VALU_DEP_1) | instskip(NEXT) | instid1(VALU_DEP_1)
	v_div_fmas_f32 v32, v32, v33, v35
	v_div_fixup_f32 v30, v32, v26, v30
	s_and_saveexec_b32 s49, s3
	s_cbranch_execz .LBB3_53
; %bb.52:                               ;   in Loop: Header=BB3_51 Depth=3
	v_add_nc_u32_e32 v31, 0x484, v31
	ds_store_b32 v31, v30
.LBB3_53:                               ;   in Loop: Header=BB3_51 Depth=3
	s_or_b32 exec_lo, exec_lo, s49
	s_and_saveexec_b32 s49, s6
	s_cbranch_execz .LBB3_50
; %bb.54:                               ;   in Loop: Header=BB3_51 Depth=3
	v_dual_mov_b32 v31, v28 :: v_dual_mov_b32 v32, v10
	v_mov_b32_e32 v33, v27
	s_mov_b32 s50, 0
	.p2align	6
.LBB3_55:                               ;   Parent Loop BB3_13 Depth=1
                                        ;     Parent Loop BB3_40 Depth=2
                                        ;       Parent Loop BB3_51 Depth=3
                                        ; =>      This Inner Loop Header: Depth=4
	ds_load_b32 v34, v32
	ds_load_b32 v35, v31
	v_add_nc_u32_e32 v33, 4, v33
	v_add_nc_u32_e32 v32, 0x110, v32
	s_delay_alu instid0(VALU_DEP_2)
	v_cmp_le_i32_e32 vcc_lo, s25, v33
	s_or_b32 s50, vcc_lo, s50
	s_waitcnt lgkmcnt(0)
	v_fma_f32 v34, -v30, v34, v35
	ds_store_b32 v31, v34
	v_add_nc_u32_e32 v31, 0x110, v31
	s_and_not1_b32 exec_lo, exec_lo, s50
	s_cbranch_execnz .LBB3_55
	s_branch .LBB3_50
.LBB3_56:                               ;   in Loop: Header=BB3_13 Depth=1
	s_and_not1_b32 vcc_lo, exec_lo, s40
	s_cbranch_vccnz .LBB3_66
; %bb.57:                               ;   in Loop: Header=BB3_13 Depth=1
	s_and_saveexec_b32 s7, s0
	s_cbranch_execz .LBB3_65
; %bb.58:                               ;   in Loop: Header=BB3_13 Depth=1
	s_lshl_b32 s47, s6, 2
	s_mul_i32 s46, s6, 0x44
	v_add_nc_u32_e32 v11, s6, v14
	s_add_i32 s47, s46, s47
	s_delay_alu instid0(SALU_CYCLE_1)
	v_dual_mov_b32 v9, s47 :: v_dual_add_nc_u32 v26, s6, v15
	s_mov_b32 s47, 0
	ds_load_b32 v25, v9
	v_mad_u64_u32 v[9:10], null, 0x44, v11, v[8:9]
	v_mad_u64_u32 v[10:11], null, 0x48, s6, v[7:8]
	v_cmp_gt_i32_e64 s6, s25, v26
	v_mov_b32_e32 v11, v3
	s_branch .LBB3_60
.LBB3_59:                               ;   in Loop: Header=BB3_60 Depth=2
	s_or_b32 exec_lo, exec_lo, s48
	v_add_nc_u32_e32 v11, 16, v11
	v_add_nc_u32_e32 v9, 64, v9
	s_delay_alu instid0(VALU_DEP_2) | instskip(SKIP_1) | instid1(SALU_CYCLE_1)
	v_cmp_le_i32_e32 vcc_lo, s25, v11
	s_or_b32 s47, vcc_lo, s47
	s_and_not1_b32 exec_lo, exec_lo, s47
	s_cbranch_execz .LBB3_65
.LBB3_60:                               ;   Parent Loop BB3_13 Depth=1
                                        ; =>  This Loop Header: Depth=2
                                        ;       Child Loop BB3_64 Depth 3
	s_delay_alu instid0(VALU_DEP_1) | instskip(SKIP_4) | instid1(VALU_DEP_1)
	v_lshl_add_u32 v28, v11, 2, s46
	ds_load_b32 v27, v28 offset:1088
	s_waitcnt lgkmcnt(0)
	buffer_gl0_inv
	v_div_scale_f32 v29, null, v25, v25, v27
	v_rcp_f32_e32 v30, v29
	s_waitcnt_depctr 0xfff
	v_fma_f32 v31, -v29, v30, 1.0
	s_delay_alu instid0(VALU_DEP_1) | instskip(SKIP_1) | instid1(VALU_DEP_1)
	v_fmac_f32_e32 v30, v31, v30
	v_div_scale_f32 v31, vcc_lo, v27, v25, v27
	v_mul_f32_e32 v32, v31, v30
	s_delay_alu instid0(VALU_DEP_1) | instskip(NEXT) | instid1(VALU_DEP_1)
	v_fma_f32 v33, -v29, v32, v31
	v_fmac_f32_e32 v32, v33, v30
	s_delay_alu instid0(VALU_DEP_1) | instskip(NEXT) | instid1(VALU_DEP_1)
	v_fma_f32 v29, -v29, v32, v31
	v_div_fmas_f32 v29, v29, v30, v32
	s_delay_alu instid0(VALU_DEP_1)
	v_div_fixup_f32 v27, v29, v25, v27
	s_and_saveexec_b32 s48, s3
	s_cbranch_execz .LBB3_62
; %bb.61:                               ;   in Loop: Header=BB3_60 Depth=2
	v_add_nc_u32_e32 v28, 0x440, v28
	ds_store_b32 v28, v27
.LBB3_62:                               ;   in Loop: Header=BB3_60 Depth=2
	s_or_b32 exec_lo, exec_lo, s48
	s_and_saveexec_b32 s48, s6
	s_cbranch_execz .LBB3_59
; %bb.63:                               ;   in Loop: Header=BB3_60 Depth=2
	v_dual_mov_b32 v28, v10 :: v_dual_mov_b32 v29, v9
	v_mov_b32_e32 v30, v26
	s_mov_b32 s49, 0
	.p2align	6
.LBB3_64:                               ;   Parent Loop BB3_13 Depth=1
                                        ;     Parent Loop BB3_60 Depth=2
                                        ; =>    This Inner Loop Header: Depth=3
	ds_load_b32 v31, v28
	ds_load_b32 v32, v29
	v_add_nc_u32_e32 v30, 4, v30
	v_add_nc_u32_e32 v28, 0x110, v28
	s_delay_alu instid0(VALU_DEP_2)
	v_cmp_le_i32_e32 vcc_lo, s25, v30
	s_or_b32 s49, vcc_lo, s49
	s_waitcnt lgkmcnt(0)
	v_fma_f32 v31, -v27, v31, v32
	ds_store_b32 v29, v31
	v_add_nc_u32_e32 v29, 0x110, v29
	s_and_not1_b32 exec_lo, exec_lo, s49
	s_cbranch_execnz .LBB3_64
	s_branch .LBB3_59
.LBB3_65:                               ;   in Loop: Header=BB3_13 Depth=1
	s_or_b32 exec_lo, exec_lo, s7
	s_waitcnt lgkmcnt(0)
	buffer_gl0_inv
.LBB3_66:                               ;   in Loop: Header=BB3_13 Depth=1
	s_and_saveexec_b32 s7, s0
	s_cbranch_execz .LBB3_76
; %bb.67:                               ;   in Loop: Header=BB3_13 Depth=1
	v_dual_mov_b32 v25, v19 :: v_dual_mov_b32 v26, v17
	v_mov_b32_e32 v9, v3
	s_mul_i32 s46, s34, s25
	s_mov_b32 s47, 0
	s_set_inst_prefetch_distance 0x1
	s_branch .LBB3_69
	.p2align	6
.LBB3_68:                               ;   in Loop: Header=BB3_69 Depth=2
	s_or_b32 exec_lo, exec_lo, s48
	v_add_nc_u32_e32 v9, 16, v9
	v_add_nc_u32_e32 v26, s44, v26
	;; [unrolled: 1-line block ×3, first 2 shown]
	s_delay_alu instid0(VALU_DEP_3) | instskip(SKIP_1) | instid1(SALU_CYCLE_1)
	v_cmp_le_i32_e32 vcc_lo, s25, v9
	s_or_b32 s47, vcc_lo, s47
	s_and_not1_b32 exec_lo, exec_lo, s47
	s_cbranch_execz .LBB3_76
.LBB3_69:                               ;   Parent Loop BB3_13 Depth=1
                                        ; =>  This Loop Header: Depth=2
                                        ;       Child Loop BB3_72 Depth 3
	s_and_saveexec_b32 s48, s2
	s_cbranch_execz .LBB3_68
; %bb.70:                               ;   in Loop: Header=BB3_69 Depth=2
	v_dual_mov_b32 v27, v25 :: v_dual_mov_b32 v28, v14
	s_mov_b32 s49, 0
	s_branch .LBB3_72
	.p2align	6
.LBB3_71:                               ;   in Loop: Header=BB3_72 Depth=3
	s_delay_alu instid0(VALU_DEP_1) | instskip(SKIP_2) | instid1(VALU_DEP_3)
	v_ashrrev_i32_e32 v11, 31, v10
	v_add_nc_u32_e32 v28, 4, v28
	v_add_nc_u32_e32 v27, 0x110, v27
	v_lshlrev_b64 v[10:11], 2, v[10:11]
	s_delay_alu instid0(VALU_DEP_3) | instskip(SKIP_1) | instid1(VALU_DEP_2)
	v_cmp_le_i32_e32 vcc_lo, s25, v28
	s_or_b32 s49, vcc_lo, s49
	v_add_co_u32 v10, s6, s12, v10
	s_delay_alu instid0(VALU_DEP_1)
	v_add_co_ci_u32_e64 v11, s6, s13, v11, s6
	s_waitcnt lgkmcnt(0)
	global_store_b32 v[10:11], v29, off
	s_and_not1_b32 exec_lo, exec_lo, s49
	s_cbranch_execz .LBB3_68
.LBB3_72:                               ;   Parent Loop BB3_13 Depth=1
                                        ;     Parent Loop BB3_69 Depth=2
                                        ; =>    This Inner Loop Header: Depth=3
	ds_load_b32 v29, v27
	s_and_b32 vcc_lo, exec_lo, s29
	s_cbranch_vccz .LBB3_74
; %bb.73:                               ;   in Loop: Header=BB3_72 Depth=3
	v_add_nc_u32_e32 v30, s46, v28
	s_delay_alu instid0(VALU_DEP_1)
	v_mad_u64_u32 v[10:11], null, v30, s25, v[9:10]
	s_cbranch_execnz .LBB3_71
	s_branch .LBB3_75
	.p2align	6
.LBB3_74:                               ;   in Loop: Header=BB3_72 Depth=3
                                        ; implicit-def: $vgpr10
.LBB3_75:                               ;   in Loop: Header=BB3_72 Depth=3
	v_add_nc_u32_e32 v10, v26, v28
	s_branch .LBB3_71
.LBB3_76:                               ;   in Loop: Header=BB3_13 Depth=1
	s_set_inst_prefetch_distance 0x2
	s_or_b32 exec_lo, exec_lo, s7
	s_sub_i32 s45, s45, s24
	s_add_i32 s6, s35, 1
	s_delay_alu instid0(SALU_CYCLE_1)
	s_cmp_ge_i32 s6, s45
	s_cbranch_scc1 .LBB3_12
; %bb.77:                               ;   in Loop: Header=BB3_13 Depth=1
	v_mad_u64_u32 v[9:10], null, s25, s6, v[3:4]
	s_delay_alu instid0(VALU_DEP_1)
	v_mul_lo_u32 v25, s25, v9
	s_branch .LBB3_81
.LBB3_78:                               ;   in Loop: Header=BB3_81 Depth=2
	s_or_b32 exec_lo, exec_lo, s35
.LBB3_79:                               ;   in Loop: Header=BB3_81 Depth=2
	s_delay_alu instid0(SALU_CYCLE_1)
	s_or_b32 exec_lo, exec_lo, s7
.LBB3_80:                               ;   in Loop: Header=BB3_81 Depth=2
	v_add_nc_u32_e32 v25, s43, v25
	s_add_i32 s6, s6, 1
	s_waitcnt lgkmcnt(0)
	s_waitcnt_vscnt null, 0x0
	buffer_gl0_inv
	s_cmp_lt_i32 s6, s45
	s_cbranch_scc0 .LBB3_12
.LBB3_81:                               ;   Parent Loop BB3_13 Depth=1
                                        ; =>  This Loop Header: Depth=2
                                        ;       Child Loop BB3_86 Depth 3
                                        ;       Child Loop BB3_95 Depth 3
                                        ;         Child Loop BB3_98 Depth 4
                                        ;       Child Loop BB3_104 Depth 3
                                        ;         Child Loop BB3_107 Depth 4
                                        ;           Child Loop BB3_108 Depth 5
	s_ashr_i32 s7, s6, 31
	v_mov_b32_e32 v10, s31
	s_lshl_b64 s[46:47], s[6:7], 2
	s_delay_alu instid0(SALU_CYCLE_1)
	s_add_u32 s46, s10, s46
	s_addc_u32 s47, s11, s47
	global_load_b32 v9, v24, s[46:47]
	s_and_saveexec_b32 s7, s4
	s_cbranch_execz .LBB3_83
; %bb.82:                               ;   in Loop: Header=BB3_81 Depth=2
	global_load_b32 v10, v[5:6], off
	s_waitcnt vmcnt(0)
	v_subrev_nc_u32_e32 v10, s24, v10
.LBB3_83:                               ;   in Loop: Header=BB3_81 Depth=2
	s_or_b32 exec_lo, exec_lo, s7
	s_waitcnt vmcnt(0)
	v_subrev_nc_u32_e32 v11, s24, v9
	v_mov_b32_e32 v26, v4
	s_mov_b32 s7, exec_lo
	s_delay_alu instid0(VALU_DEP_2)
	v_cmpx_lt_i32_e64 v10, v11
	s_cbranch_execz .LBB3_89
; %bb.84:                               ;   in Loop: Header=BB3_81 Depth=2
	v_mov_b32_e32 v9, v4
	s_mov_b32 s35, 0
	s_branch .LBB3_86
	.p2align	6
.LBB3_85:                               ;   in Loop: Header=BB3_86 Depth=3
	s_or_b32 exec_lo, exec_lo, s46
	s_delay_alu instid0(VALU_DEP_1) | instskip(SKIP_2) | instid1(SALU_CYCLE_1)
	v_cmp_ge_i32_e32 vcc_lo, v10, v11
	v_mov_b32_e32 v9, v26
	s_or_b32 s35, vcc_lo, s35
	s_and_not1_b32 exec_lo, exec_lo, s35
	s_cbranch_execz .LBB3_88
.LBB3_86:                               ;   Parent Loop BB3_13 Depth=1
                                        ;     Parent Loop BB3_81 Depth=2
                                        ; =>    This Inner Loop Header: Depth=3
	s_delay_alu instid0(VALU_DEP_1) | instskip(SKIP_2) | instid1(VALU_DEP_2)
	v_add_nc_u32_e32 v26, 64, v9
	v_mov_b32_e32 v10, s31
	s_mov_b32 s46, exec_lo
	v_cmpx_gt_i32_e64 s33, v26
	s_cbranch_execz .LBB3_85
; %bb.87:                               ;   in Loop: Header=BB3_86 Depth=3
	v_ashrrev_i32_e32 v10, 31, v9
	s_delay_alu instid0(VALU_DEP_1) | instskip(NEXT) | instid1(VALU_DEP_1)
	v_lshlrev_b64 v[9:10], 2, v[9:10]
	v_add_co_u32 v9, vcc_lo, s41, v9
	s_delay_alu instid0(VALU_DEP_2)
	v_add_co_ci_u32_e32 v10, vcc_lo, s42, v10, vcc_lo
	global_load_b32 v9, v[9:10], off
	s_waitcnt vmcnt(0)
	v_subrev_nc_u32_e32 v10, s24, v9
	s_branch .LBB3_85
.LBB3_88:                               ;   in Loop: Header=BB3_81 Depth=2
	s_or_b32 exec_lo, exec_lo, s35
.LBB3_89:                               ;   in Loop: Header=BB3_81 Depth=2
	s_delay_alu instid0(SALU_CYCLE_1)
	s_or_b32 exec_lo, exec_lo, s7
	v_cmp_eq_u32_e32 vcc_lo, v10, v11
	s_cbranch_vccz .LBB3_80
; %bb.90:                               ;   in Loop: Header=BB3_81 Depth=2
	s_ctz_i32_b32 s7, vcc_lo
	s_delay_alu instid0(SALU_CYCLE_1) | instskip(NEXT) | instid1(SALU_CYCLE_1)
	s_lshl_b32 s7, s7, 2
	v_mov_b32_e32 v9, s7
	ds_bpermute_b32 v26, v9, v26
	s_and_saveexec_b32 s7, s1
	s_delay_alu instid0(SALU_CYCLE_1)
	s_xor_b32 s7, exec_lo, s7
	s_cbranch_execz .LBB3_92
; %bb.91:                               ;   in Loop: Header=BB3_81 Depth=2
	s_waitcnt lgkmcnt(0)
	s_waitcnt_vscnt null, 0x0
	buffer_gl0_inv
                                        ; implicit-def: $vgpr26
.LBB3_92:                               ;   in Loop: Header=BB3_81 Depth=2
	s_and_not1_saveexec_b32 s7, s7
	s_cbranch_execz .LBB3_79
; %bb.93:                               ;   in Loop: Header=BB3_81 Depth=2
	v_dual_mov_b32 v27, v16 :: v_dual_mov_b32 v28, v25
	v_mov_b32_e32 v9, v3
	s_mul_i32 s46, s6, s25
	s_mov_b32 s35, 0
	s_set_inst_prefetch_distance 0x1
	s_branch .LBB3_95
	.p2align	6
.LBB3_94:                               ;   in Loop: Header=BB3_95 Depth=3
	s_or_b32 exec_lo, exec_lo, s47
	v_add_nc_u32_e32 v9, 16, v9
	v_add_nc_u32_e32 v28, s44, v28
	;; [unrolled: 1-line block ×3, first 2 shown]
	s_delay_alu instid0(VALU_DEP_3) | instskip(SKIP_1) | instid1(SALU_CYCLE_1)
	v_cmp_le_i32_e32 vcc_lo, s25, v9
	s_or_b32 s35, vcc_lo, s35
	s_and_not1_b32 exec_lo, exec_lo, s35
	s_cbranch_execz .LBB3_102
.LBB3_95:                               ;   Parent Loop BB3_13 Depth=1
                                        ;     Parent Loop BB3_81 Depth=2
                                        ; =>    This Loop Header: Depth=3
                                        ;         Child Loop BB3_98 Depth 4
	s_and_saveexec_b32 s47, s2
	s_cbranch_execz .LBB3_94
; %bb.96:                               ;   in Loop: Header=BB3_95 Depth=3
	v_dual_mov_b32 v29, v27 :: v_dual_mov_b32 v30, v14
	s_mov_b32 s48, 0
	s_branch .LBB3_98
	.p2align	6
.LBB3_97:                               ;   in Loop: Header=BB3_98 Depth=4
	s_delay_alu instid0(VALU_DEP_1) | instskip(SKIP_1) | instid1(VALU_DEP_2)
	v_ashrrev_i32_e32 v11, 31, v10
	v_add_nc_u32_e32 v30, 4, v30
	v_lshlrev_b64 v[10:11], 2, v[10:11]
	s_delay_alu instid0(VALU_DEP_1) | instskip(NEXT) | instid1(VALU_DEP_2)
	v_add_co_u32 v10, vcc_lo, s12, v10
	v_add_co_ci_u32_e32 v11, vcc_lo, s13, v11, vcc_lo
	s_delay_alu instid0(VALU_DEP_4)
	v_cmp_le_i32_e32 vcc_lo, s25, v30
	global_load_b32 v10, v[10:11], off
	s_or_b32 s48, vcc_lo, s48
	s_waitcnt vmcnt(0)
	ds_store_b32 v29, v10
	v_add_nc_u32_e32 v29, 0x110, v29
	s_and_not1_b32 exec_lo, exec_lo, s48
	s_cbranch_execz .LBB3_94
.LBB3_98:                               ;   Parent Loop BB3_13 Depth=1
                                        ;     Parent Loop BB3_81 Depth=2
                                        ;       Parent Loop BB3_95 Depth=3
                                        ; =>      This Inner Loop Header: Depth=4
	s_and_b32 vcc_lo, exec_lo, s29
	s_cbranch_vccz .LBB3_100
; %bb.99:                               ;   in Loop: Header=BB3_98 Depth=4
	v_add_nc_u32_e32 v31, s46, v30
	s_delay_alu instid0(VALU_DEP_1)
	v_mad_u64_u32 v[10:11], null, v31, s25, v[9:10]
	s_cbranch_execnz .LBB3_97
	s_branch .LBB3_101
	.p2align	6
.LBB3_100:                              ;   in Loop: Header=BB3_98 Depth=4
                                        ; implicit-def: $vgpr10
.LBB3_101:                              ;   in Loop: Header=BB3_98 Depth=4
	v_add_nc_u32_e32 v10, v28, v30
	s_branch .LBB3_97
.LBB3_102:                              ;   in Loop: Header=BB3_81 Depth=2
	s_set_inst_prefetch_distance 0x2
	s_or_b32 exec_lo, exec_lo, s35
	s_waitcnt lgkmcnt(0)
	v_mul_lo_u32 v26, v26, s25
	v_mov_b32_e32 v27, v23
	v_mov_b32_e32 v9, v3
	s_mov_b32 s35, 0
	s_waitcnt_vscnt null, 0x0
	buffer_gl0_inv
	s_branch .LBB3_104
.LBB3_103:                              ;   in Loop: Header=BB3_104 Depth=3
	s_set_inst_prefetch_distance 0x2
	s_or_b32 exec_lo, exec_lo, s46
	v_add_nc_u32_e32 v9, 16, v9
	v_add_nc_u32_e32 v27, 64, v27
	s_delay_alu instid0(VALU_DEP_2) | instskip(SKIP_1) | instid1(SALU_CYCLE_1)
	v_cmp_le_i32_e32 vcc_lo, s25, v9
	s_or_b32 s35, vcc_lo, s35
	s_and_not1_b32 exec_lo, exec_lo, s35
	s_cbranch_execz .LBB3_78
.LBB3_104:                              ;   Parent Loop BB3_13 Depth=1
                                        ;     Parent Loop BB3_81 Depth=2
                                        ; =>    This Loop Header: Depth=3
                                        ;         Child Loop BB3_107 Depth 4
                                        ;           Child Loop BB3_108 Depth 5
	s_and_saveexec_b32 s46, s2
	s_cbranch_execz .LBB3_103
; %bb.105:                              ;   in Loop: Header=BB3_104 Depth=3
	v_dual_mov_b32 v29, v18 :: v_dual_add_nc_u32 v10, v9, v26
	v_mov_b32_e32 v30, v14
	s_mov_b32 s47, 0
	s_delay_alu instid0(VALU_DEP_2)
	v_mul_lo_u32 v28, v10, s25
	s_set_inst_prefetch_distance 0x1
	s_branch .LBB3_107
	.p2align	6
.LBB3_106:                              ;   in Loop: Header=BB3_107 Depth=4
	s_delay_alu instid0(VALU_DEP_1) | instskip(SKIP_1) | instid1(VALU_DEP_2)
	v_ashrrev_i32_e32 v11, 31, v10
	v_add_nc_u32_e32 v29, 0x110, v29
	v_lshlrev_b64 v[10:11], 2, v[10:11]
	s_delay_alu instid0(VALU_DEP_1) | instskip(NEXT) | instid1(VALU_DEP_2)
	v_add_co_u32 v10, vcc_lo, s12, v10
	v_add_co_ci_u32_e32 v11, vcc_lo, s13, v11, vcc_lo
	global_load_b32 v32, v[10:11], off
	s_waitcnt vmcnt(0)
	v_dual_sub_f32 v31, v32, v31 :: v_dual_add_nc_u32 v30, 4, v30
	s_delay_alu instid0(VALU_DEP_1) | instskip(SKIP_2) | instid1(SALU_CYCLE_1)
	v_cmp_le_i32_e32 vcc_lo, s25, v30
	global_store_b32 v[10:11], v31, off
	s_or_b32 s47, vcc_lo, s47
	s_and_not1_b32 exec_lo, exec_lo, s47
	s_cbranch_execz .LBB3_103
.LBB3_107:                              ;   Parent Loop BB3_13 Depth=1
                                        ;     Parent Loop BB3_81 Depth=2
                                        ;       Parent Loop BB3_104 Depth=3
                                        ; =>      This Loop Header: Depth=4
                                        ;           Child Loop BB3_108 Depth 5
	v_dual_mov_b32 v31, 0 :: v_dual_mov_b32 v10, v27
	v_mov_b32_e32 v11, v29
	s_mov_b32 s48, s25
.LBB3_108:                              ;   Parent Loop BB3_13 Depth=1
                                        ;     Parent Loop BB3_81 Depth=2
                                        ;       Parent Loop BB3_104 Depth=3
                                        ;         Parent Loop BB3_107 Depth=4
                                        ; =>        This Inner Loop Header: Depth=5
	ds_load_b32 v32, v10
	ds_load_b32 v33, v11
	v_add_nc_u32_e32 v11, 4, v11
	v_add_nc_u32_e32 v10, 0x44, v10
	s_add_i32 s48, s48, -1
	s_delay_alu instid0(SALU_CYCLE_1)
	s_cmp_eq_u32 s48, 0
	s_waitcnt lgkmcnt(0)
	v_fmac_f32_e32 v31, v32, v33
	s_cbranch_scc0 .LBB3_108
; %bb.109:                              ;   in Loop: Header=BB3_107 Depth=4
	s_and_b32 vcc_lo, exec_lo, s29
	s_cbranch_vccz .LBB3_111
; %bb.110:                              ;   in Loop: Header=BB3_107 Depth=4
	v_add_nc_u32_e32 v32, v30, v26
	s_delay_alu instid0(VALU_DEP_1)
	v_mad_u64_u32 v[10:11], null, v32, s25, v[9:10]
	s_cbranch_execnz .LBB3_106
	s_branch .LBB3_112
.LBB3_111:                              ;   in Loop: Header=BB3_107 Depth=4
                                        ; implicit-def: $vgpr10
.LBB3_112:                              ;   in Loop: Header=BB3_107 Depth=4
	v_add_nc_u32_e32 v10, v30, v28
	s_branch .LBB3_106
.LBB3_113:
	s_ashr_i32 s29, s28, 31
	v_mov_b32_e32 v3, 0
	s_lshl_b64 s[0:1], s[28:29], 2
	s_delay_alu instid0(SALU_CYCLE_1) | instskip(SKIP_4) | instid1(VALU_DEP_1)
	s_add_u32 s0, s10, s0
	s_addc_u32 s1, s11, s1
	global_load_b32 v3, v3, s[0:1]
	s_waitcnt vmcnt(0)
	v_subrev_nc_u32_e32 v3, s24, v3
	v_cmp_ne_u32_e32 vcc_lo, s22, v3
	s_cbranch_vccnz .LBB3_158
; %bb.114:
	v_and_b32_e32 v3, 0x3ff, v0
	s_delay_alu instid0(VALU_DEP_1) | instskip(NEXT) | instid1(VALU_DEP_1)
	v_cmp_gt_i32_e64 s0, s25, v3
	s_and_saveexec_b32 s2, s0
	s_cbranch_execz .LBB3_125
; %bb.115:
	s_mul_i32 s3, s28, s25
	v_bfe_u32 v7, v0, 10, 10
	v_add_nc_u32_e32 v4, s3, v3
	v_lshlrev_b32_e32 v5, 2, v3
	s_cmp_lg_u32 s30, 0
	s_mov_b32 s4, 0
	v_cmp_gt_u32_e64 s1, s25, v7
	v_mul_lo_u32 v8, s25, v4
	v_mov_b32_e32 v4, v3
	v_mad_u32_u24 v9, 0x44, v7, v5
	s_cselect_b32 s5, -1, 0
	s_lshl_b32 s6, s25, 4
	s_set_inst_prefetch_distance 0x1
	s_branch .LBB3_117
	.p2align	6
.LBB3_116:                              ;   in Loop: Header=BB3_117 Depth=1
	s_or_b32 exec_lo, exec_lo, s7
	v_add_nc_u32_e32 v4, 16, v4
	v_add_nc_u32_e32 v8, s6, v8
	;; [unrolled: 1-line block ×3, first 2 shown]
	s_delay_alu instid0(VALU_DEP_3) | instskip(SKIP_1) | instid1(SALU_CYCLE_1)
	v_cmp_le_i32_e32 vcc_lo, s25, v4
	s_or_b32 s4, vcc_lo, s4
	s_and_not1_b32 exec_lo, exec_lo, s4
	s_cbranch_execz .LBB3_125
.LBB3_117:                              ; =>This Loop Header: Depth=1
                                        ;     Child Loop BB3_120 Depth 2
	s_and_saveexec_b32 s7, s1
	s_cbranch_execz .LBB3_116
; %bb.118:                              ;   in Loop: Header=BB3_117 Depth=1
	v_dual_mov_b32 v10, v9 :: v_dual_mov_b32 v11, v7
	s_mov_b32 s8, 0
	s_branch .LBB3_120
	.p2align	6
.LBB3_119:                              ;   in Loop: Header=BB3_120 Depth=2
	s_delay_alu instid0(VALU_DEP_1) | instskip(SKIP_1) | instid1(VALU_DEP_2)
	v_ashrrev_i32_e32 v6, 31, v5
	v_add_nc_u32_e32 v11, 4, v11
	v_lshlrev_b64 v[5:6], 2, v[5:6]
	s_delay_alu instid0(VALU_DEP_1) | instskip(NEXT) | instid1(VALU_DEP_2)
	v_add_co_u32 v5, vcc_lo, s12, v5
	v_add_co_ci_u32_e32 v6, vcc_lo, s13, v6, vcc_lo
	s_delay_alu instid0(VALU_DEP_4)
	v_cmp_le_i32_e32 vcc_lo, s25, v11
	global_load_b32 v5, v[5:6], off
	s_or_b32 s8, vcc_lo, s8
	s_waitcnt vmcnt(0)
	ds_store_b32 v10, v5
	v_add_nc_u32_e32 v10, 0x110, v10
	s_and_not1_b32 exec_lo, exec_lo, s8
	s_cbranch_execz .LBB3_116
.LBB3_120:                              ;   Parent Loop BB3_117 Depth=1
                                        ; =>  This Inner Loop Header: Depth=2
	s_and_b32 vcc_lo, exec_lo, s5
	s_cbranch_vccz .LBB3_122
; %bb.121:                              ;   in Loop: Header=BB3_120 Depth=2
	v_add_nc_u32_e32 v14, s3, v11
	s_delay_alu instid0(VALU_DEP_1)
	v_mad_u64_u32 v[5:6], null, v14, s25, v[4:5]
	s_cbranch_execnz .LBB3_119
	s_branch .LBB3_123
	.p2align	6
.LBB3_122:                              ;   in Loop: Header=BB3_120 Depth=2
                                        ; implicit-def: $vgpr5
.LBB3_123:                              ;   in Loop: Header=BB3_120 Depth=2
	v_add_nc_u32_e32 v5, v8, v11
	s_branch .LBB3_119
.LBB3_124:
	s_mov_b32 s23, -1
	s_branch .LBB3_191
.LBB3_125:
	s_set_inst_prefetch_distance 0x2
	s_or_b32 exec_lo, exec_lo, s2
	s_cmp_lt_i32 s25, 1
	s_waitcnt lgkmcnt(0)
	s_waitcnt_vscnt null, 0x0
	buffer_gl0_inv
	s_cbranch_scc1 .LBB3_147
; %bb.126:
	v_cvt_f64_f32_e32 v[5:6], v13
	v_bfe_u32 v7, v0, 10, 10
	s_cmp_eq_u64 s[16:17], 8
	v_lshl_add_u32 v8, v3, 2, 0x48
	s_cselect_b32 vcc_lo, -1, 0
	s_mov_b32 s4, 0
	v_or_b32_e32 v9, v3, v7
	v_cmp_eq_u32_e64 s1, 0, v7
	v_mul_u32_u24_e32 v4, 0x44, v7
	s_delay_alu instid0(VALU_DEP_3)
	v_cmp_eq_u32_e64 s2, 0, v9
	v_dual_cndmask_b32 v2, v6, v2 :: v_dual_cndmask_b32 v1, v5, v1
.LBB3_127:                              ; =>This Loop Header: Depth=1
                                        ;     Child Loop BB3_139 Depth 2
                                        ;       Child Loop BB3_143 Depth 3
	s_lshl_b32 s3, s4, 2
	s_mul_i32 s5, s4, 0x44
	s_and_not1_b32 vcc_lo, exec_lo, s36
	s_add_i32 s3, s5, s3
	s_waitcnt lgkmcnt(0)
	v_mov_b32_e32 v5, s3
	ds_load_b32 v5, v5
	s_cbranch_vccnz .LBB3_131
; %bb.128:                              ;   in Loop: Header=BB3_127 Depth=1
	s_waitcnt lgkmcnt(0)
	v_cmp_gt_f32_e32 vcc_lo, 0, v5
	buffer_gl0_inv
	v_cndmask_b32_e64 v6, v5, -v5, vcc_lo
	s_delay_alu instid0(VALU_DEP_1) | instskip(NEXT) | instid1(VALU_DEP_1)
	v_cvt_f64_f32_e32 v[9:10], v6
	v_cmp_ge_f64_e32 vcc_lo, v[1:2], v[9:10]
	v_cndmask_b32_e32 v9, v5, v12, vcc_lo
	s_and_saveexec_b32 s6, s2
	s_cbranch_execz .LBB3_130
; %bb.129:                              ;   in Loop: Header=BB3_127 Depth=1
	v_mov_b32_e32 v6, s3
	ds_store_b32 v6, v9
.LBB3_130:                              ;   in Loop: Header=BB3_127 Depth=1
	s_or_b32 exec_lo, exec_lo, s6
	s_mov_b32 s3, -1
	s_mov_b32 s7, 0
	s_cbranch_execz .LBB3_132
	s_branch .LBB3_133
.LBB3_131:                              ;   in Loop: Header=BB3_127 Depth=1
	s_mov_b32 s3, 0
                                        ; implicit-def: $vgpr9
	s_mov_b32 s7, 0
.LBB3_132:                              ;   in Loop: Header=BB3_127 Depth=1
	s_waitcnt lgkmcnt(0)
	v_cmp_neq_f32_e64 s3, 0, v5
	v_mov_b32_e32 v9, v5
	s_mov_b32 s7, -1
.LBB3_133:                              ;   in Loop: Header=BB3_127 Depth=1
	s_delay_alu instid0(VALU_DEP_2)
	s_and_not1_b32 vcc_lo, exec_lo, s3
                                        ; implicit-def: $sgpr6
	s_cbranch_vccz .LBB3_136
; %bb.134:                              ;   in Loop: Header=BB3_127 Depth=1
	s_and_not1_b32 vcc_lo, exec_lo, s7
	s_cbranch_vccz .LBB3_145
.LBB3_135:                              ;   in Loop: Header=BB3_127 Depth=1
	s_cmp_eq_u32 s6, s25
	s_cbranch_scc0 .LBB3_146
	s_branch .LBB3_147
.LBB3_136:                              ;   in Loop: Header=BB3_127 Depth=1
	s_add_i32 s6, s4, 1
	s_mov_b32 s7, exec_lo
	v_add_nc_u32_e32 v10, s6, v3
	s_delay_alu instid0(VALU_DEP_1)
	v_cmpx_gt_i32_e64 s25, v10
	s_cbranch_execz .LBB3_144
; %bb.137:                              ;   in Loop: Header=BB3_127 Depth=1
	v_add_nc_u32_e32 v11, s6, v7
	s_waitcnt lgkmcnt(0)
	v_mad_u64_u32 v[5:6], null, 0x48, s4, v[4:5]
	v_mov_b32_e32 v6, v8
	s_mov_b32 s8, 0
	v_cmp_gt_i32_e64 s3, s25, v11
	s_branch .LBB3_139
.LBB3_138:                              ;   in Loop: Header=BB3_139 Depth=2
	s_or_b32 exec_lo, exec_lo, s9
	v_add_nc_u32_e32 v10, 16, v10
	v_add_nc_u32_e32 v6, 64, v6
	s_delay_alu instid0(VALU_DEP_2) | instskip(SKIP_1) | instid1(SALU_CYCLE_1)
	v_cmp_le_i32_e32 vcc_lo, s25, v10
	s_or_b32 s8, vcc_lo, s8
	s_and_not1_b32 exec_lo, exec_lo, s8
	s_cbranch_execz .LBB3_144
.LBB3_139:                              ;   Parent Loop BB3_127 Depth=1
                                        ; =>  This Loop Header: Depth=2
                                        ;       Child Loop BB3_143 Depth 3
	v_lshl_add_u32 v14, v10, 2, s5
	ds_load_b32 v13, v14
	s_waitcnt lgkmcnt(0)
	buffer_gl0_inv
	v_div_scale_f32 v15, null, v9, v9, v13
	s_delay_alu instid0(VALU_DEP_1) | instskip(SKIP_2) | instid1(VALU_DEP_1)
	v_rcp_f32_e32 v16, v15
	s_waitcnt_depctr 0xfff
	v_fma_f32 v17, -v15, v16, 1.0
	v_fmac_f32_e32 v16, v17, v16
	v_div_scale_f32 v17, vcc_lo, v13, v9, v13
	s_delay_alu instid0(VALU_DEP_1) | instskip(NEXT) | instid1(VALU_DEP_1)
	v_mul_f32_e32 v18, v17, v16
	v_fma_f32 v19, -v15, v18, v17
	s_delay_alu instid0(VALU_DEP_1) | instskip(NEXT) | instid1(VALU_DEP_1)
	v_fmac_f32_e32 v18, v19, v16
	v_fma_f32 v15, -v15, v18, v17
	s_delay_alu instid0(VALU_DEP_1) | instskip(NEXT) | instid1(VALU_DEP_1)
	v_div_fmas_f32 v15, v15, v16, v18
	v_div_fixup_f32 v13, v15, v9, v13
	s_and_saveexec_b32 s9, s1
	s_cbranch_execz .LBB3_141
; %bb.140:                              ;   in Loop: Header=BB3_139 Depth=2
	ds_store_b32 v14, v13
.LBB3_141:                              ;   in Loop: Header=BB3_139 Depth=2
	s_or_b32 exec_lo, exec_lo, s9
	s_and_saveexec_b32 s9, s3
	s_cbranch_execz .LBB3_138
; %bb.142:                              ;   in Loop: Header=BB3_139 Depth=2
	v_dual_mov_b32 v14, v5 :: v_dual_mov_b32 v15, v11
	s_mov_b32 s10, 0
	.p2align	6
.LBB3_143:                              ;   Parent Loop BB3_127 Depth=1
                                        ;     Parent Loop BB3_139 Depth=2
                                        ; =>    This Inner Loop Header: Depth=3
	s_delay_alu instid0(VALU_DEP_1) | instskip(NEXT) | instid1(VALU_DEP_2)
	v_add_nc_u32_e32 v16, v14, v6
	v_add_nc_u32_e32 v15, 4, v15
	ds_load_b32 v17, v14 offset:68
	ds_load_b32 v18, v16
	v_add_nc_u32_e32 v14, 0x110, v14
	v_cmp_le_i32_e32 vcc_lo, s25, v15
	s_or_b32 s10, vcc_lo, s10
	s_waitcnt lgkmcnt(0)
	v_fma_f32 v17, -v13, v17, v18
	ds_store_b32 v16, v17
	s_and_not1_b32 exec_lo, exec_lo, s10
	s_cbranch_execnz .LBB3_143
	s_branch .LBB3_138
.LBB3_144:                              ;   in Loop: Header=BB3_127 Depth=1
	s_or_b32 exec_lo, exec_lo, s7
	s_cbranch_execnz .LBB3_135
.LBB3_145:                              ;   in Loop: Header=BB3_127 Depth=1
	s_add_i32 s6, s4, 1
	s_mov_b32 s23, -1
	s_cmp_eq_u32 s6, s25
	s_cbranch_scc1 .LBB3_147
.LBB3_146:                              ;   in Loop: Header=BB3_127 Depth=1
	s_mov_b32 s4, s6
	s_branch .LBB3_127
.LBB3_147:
	s_waitcnt lgkmcnt(0)
	buffer_gl0_inv
	s_and_saveexec_b32 s2, s0
	s_cbranch_execz .LBB3_157
; %bb.148:
	s_mul_i32 s3, s28, s25
	v_bfe_u32 v4, v0, 10, 10
	v_add_nc_u32_e32 v1, s3, v3
	v_lshlrev_b32_e32 v2, 2, v3
	s_cmp_lg_u32 s30, 0
	s_mov_b32 s4, 0
	v_cmp_gt_u32_e64 s0, s25, v4
	v_mul_lo_u32 v5, s25, v1
	v_mad_u32_u24 v6, 0x44, v4, v2
	s_cselect_b32 s5, -1, 0
	s_lshl_b32 s6, s25, 4
	s_set_inst_prefetch_distance 0x1
	s_branch .LBB3_150
	.p2align	6
.LBB3_149:                              ;   in Loop: Header=BB3_150 Depth=1
	s_or_b32 exec_lo, exec_lo, s7
	v_add_nc_u32_e32 v3, 16, v3
	v_add_nc_u32_e32 v5, s6, v5
	;; [unrolled: 1-line block ×3, first 2 shown]
	s_delay_alu instid0(VALU_DEP_3) | instskip(SKIP_1) | instid1(SALU_CYCLE_1)
	v_cmp_le_i32_e32 vcc_lo, s25, v3
	s_or_b32 s4, vcc_lo, s4
	s_and_not1_b32 exec_lo, exec_lo, s4
	s_cbranch_execz .LBB3_157
.LBB3_150:                              ; =>This Loop Header: Depth=1
                                        ;     Child Loop BB3_153 Depth 2
	s_and_saveexec_b32 s7, s0
	s_cbranch_execz .LBB3_149
; %bb.151:                              ;   in Loop: Header=BB3_150 Depth=1
	v_dual_mov_b32 v7, v6 :: v_dual_mov_b32 v8, v4
	s_mov_b32 s8, 0
	s_branch .LBB3_153
	.p2align	6
.LBB3_152:                              ;   in Loop: Header=BB3_153 Depth=2
	s_delay_alu instid0(VALU_DEP_1) | instskip(SKIP_2) | instid1(VALU_DEP_3)
	v_ashrrev_i32_e32 v2, 31, v1
	v_add_nc_u32_e32 v8, 4, v8
	v_add_nc_u32_e32 v7, 0x110, v7
	v_lshlrev_b64 v[1:2], 2, v[1:2]
	s_delay_alu instid0(VALU_DEP_3) | instskip(SKIP_1) | instid1(VALU_DEP_2)
	v_cmp_le_i32_e32 vcc_lo, s25, v8
	s_or_b32 s8, vcc_lo, s8
	v_add_co_u32 v1, s1, s12, v1
	s_delay_alu instid0(VALU_DEP_1)
	v_add_co_ci_u32_e64 v2, s1, s13, v2, s1
	s_waitcnt lgkmcnt(0)
	global_store_b32 v[1:2], v9, off
	s_and_not1_b32 exec_lo, exec_lo, s8
	s_cbranch_execz .LBB3_149
.LBB3_153:                              ;   Parent Loop BB3_150 Depth=1
                                        ; =>  This Inner Loop Header: Depth=2
	ds_load_b32 v9, v7
	s_and_b32 vcc_lo, exec_lo, s5
	s_cbranch_vccz .LBB3_155
; %bb.154:                              ;   in Loop: Header=BB3_153 Depth=2
	v_add_nc_u32_e32 v10, s3, v8
	s_delay_alu instid0(VALU_DEP_1)
	v_mad_u64_u32 v[1:2], null, v10, s25, v[3:4]
	s_cbranch_execnz .LBB3_152
	s_branch .LBB3_156
	.p2align	6
.LBB3_155:                              ;   in Loop: Header=BB3_153 Depth=2
                                        ; implicit-def: $vgpr1
.LBB3_156:                              ;   in Loop: Header=BB3_153 Depth=2
	v_add_nc_u32_e32 v1, v5, v8
	s_branch .LBB3_152
.LBB3_157:
	s_set_inst_prefetch_distance 0x2
	s_or_b32 exec_lo, exec_lo, s2
.LBB3_158:
	s_add_i32 s3, s28, 1
	s_delay_alu instid0(SALU_CYCLE_1)
	s_cmp_ge_i32 s3, s33
	s_cbranch_scc1 .LBB3_191
; %bb.159:
	v_and_b32_e32 v1, 0x3ff, v0
	v_bfe_u32 v5, v0, 10, 10
	s_cmp_lg_u32 s30, 0
	s_mul_i32 s6, s25, s25
	s_cselect_b32 s4, -1, 0
	v_mad_u64_u32 v[2:3], null, s25, s3, v[1:2]
	v_mul_u32_u24_e32 v3, 0x44, v5
	v_lshlrev_b32_e32 v4, 2, v1
	v_mul_u32_u24_e32 v9, 0x44, v1
	v_lshlrev_b32_e32 v10, 2, v5
	s_cmp_gt_i32 s25, 0
	v_cmp_gt_i32_e64 s0, s25, v1
	v_cmp_gt_i32_e64 s1, s25, v5
	v_add_nc_u32_e32 v6, 1, v5
	v_mul_lo_u32 v7, s25, v2
	v_add3_u32 v8, v3, v4, 0x440
	v_add3_u32 v9, v10, v9, 0x444
	v_add_nc_u32_e32 v10, 4, v10
	s_cselect_b32 s5, -1, 0
	s_lshl_b32 s7, s25, 4
.LBB3_160:                              ; =>This Loop Header: Depth=1
                                        ;     Child Loop BB3_163 Depth 2
                                        ;       Child Loop BB3_166 Depth 3
                                        ;     Child Loop BB3_173 Depth 2
                                        ;       Child Loop BB3_176 Depth 3
                                        ;         Child Loop BB3_178 Depth 4
                                        ;     Child Loop BB3_182 Depth 2
                                        ;       Child Loop BB3_185 Depth 3
	s_mul_i32 s8, s3, s25
	s_waitcnt lgkmcnt(0)
	s_waitcnt_vscnt null, 0x0
	buffer_gl0_inv
	s_and_saveexec_b32 s2, s0
	s_cbranch_execz .LBB3_170
; %bb.161:                              ;   in Loop: Header=BB3_160 Depth=1
	v_dual_mov_b32 v11, v8 :: v_dual_mov_b32 v12, v7
	v_mov_b32_e32 v2, v1
	s_mov_b32 s9, 0
	s_set_inst_prefetch_distance 0x1
	s_branch .LBB3_163
	.p2align	6
.LBB3_162:                              ;   in Loop: Header=BB3_163 Depth=2
	s_or_b32 exec_lo, exec_lo, s10
	v_add_nc_u32_e32 v2, 16, v2
	v_add_nc_u32_e32 v12, s7, v12
	;; [unrolled: 1-line block ×3, first 2 shown]
	s_delay_alu instid0(VALU_DEP_3) | instskip(SKIP_1) | instid1(SALU_CYCLE_1)
	v_cmp_le_i32_e32 vcc_lo, s25, v2
	s_or_b32 s9, vcc_lo, s9
	s_and_not1_b32 exec_lo, exec_lo, s9
	s_cbranch_execz .LBB3_170
.LBB3_163:                              ;   Parent Loop BB3_160 Depth=1
                                        ; =>  This Loop Header: Depth=2
                                        ;       Child Loop BB3_166 Depth 3
	s_and_saveexec_b32 s10, s1
	s_cbranch_execz .LBB3_162
; %bb.164:                              ;   in Loop: Header=BB3_163 Depth=2
	v_dual_mov_b32 v13, v11 :: v_dual_mov_b32 v14, v5
	s_mov_b32 s11, 0
	s_branch .LBB3_166
	.p2align	6
.LBB3_165:                              ;   in Loop: Header=BB3_166 Depth=3
	s_delay_alu instid0(VALU_DEP_1) | instskip(SKIP_1) | instid1(VALU_DEP_2)
	v_ashrrev_i32_e32 v4, 31, v3
	v_add_nc_u32_e32 v14, 4, v14
	v_lshlrev_b64 v[3:4], 2, v[3:4]
	s_delay_alu instid0(VALU_DEP_1) | instskip(NEXT) | instid1(VALU_DEP_2)
	v_add_co_u32 v3, vcc_lo, s12, v3
	v_add_co_ci_u32_e32 v4, vcc_lo, s13, v4, vcc_lo
	s_delay_alu instid0(VALU_DEP_4)
	v_cmp_le_i32_e32 vcc_lo, s25, v14
	global_load_b32 v3, v[3:4], off
	s_or_b32 s11, vcc_lo, s11
	s_waitcnt vmcnt(0)
	ds_store_b32 v13, v3
	v_add_nc_u32_e32 v13, 0x110, v13
	s_and_not1_b32 exec_lo, exec_lo, s11
	s_cbranch_execz .LBB3_162
.LBB3_166:                              ;   Parent Loop BB3_160 Depth=1
                                        ;     Parent Loop BB3_163 Depth=2
                                        ; =>    This Inner Loop Header: Depth=3
	s_and_b32 vcc_lo, exec_lo, s4
	s_cbranch_vccz .LBB3_168
; %bb.167:                              ;   in Loop: Header=BB3_166 Depth=3
	v_add_nc_u32_e32 v15, s8, v14
	s_delay_alu instid0(VALU_DEP_1)
	v_mad_u64_u32 v[3:4], null, v15, s25, v[2:3]
	s_cbranch_execnz .LBB3_165
	s_branch .LBB3_169
	.p2align	6
.LBB3_168:                              ;   in Loop: Header=BB3_166 Depth=3
                                        ; implicit-def: $vgpr3
.LBB3_169:                              ;   in Loop: Header=BB3_166 Depth=3
	v_add_nc_u32_e32 v3, v12, v14
	s_branch .LBB3_165
.LBB3_170:                              ;   in Loop: Header=BB3_160 Depth=1
	s_set_inst_prefetch_distance 0x2
	s_or_b32 exec_lo, exec_lo, s2
	s_delay_alu instid0(SALU_CYCLE_1)
	s_and_not1_b32 vcc_lo, exec_lo, s5
	s_waitcnt lgkmcnt(0)
	buffer_gl0_inv
	s_cbranch_vccnz .LBB3_179
; %bb.171:                              ;   in Loop: Header=BB3_160 Depth=1
	v_dual_mov_b32 v2, v10 :: v_dual_mov_b32 v3, v9
	s_mov_b32 s9, 0
	s_branch .LBB3_173
.LBB3_172:                              ;   in Loop: Header=BB3_173 Depth=2
	s_set_inst_prefetch_distance 0x2
	s_or_b32 exec_lo, exec_lo, s10
	v_add_nc_u32_e32 v3, 4, v3
	v_add_nc_u32_e32 v2, 0x48, v2
	s_add_i32 s9, s9, 1
	s_delay_alu instid0(SALU_CYCLE_1)
	s_cmp_eq_u32 s9, s25
	s_cbranch_scc1 .LBB3_179
.LBB3_173:                              ;   Parent Loop BB3_160 Depth=1
                                        ; =>  This Loop Header: Depth=2
                                        ;       Child Loop BB3_176 Depth 3
                                        ;         Child Loop BB3_178 Depth 4
	s_and_saveexec_b32 s10, s0
	s_cbranch_execz .LBB3_172
; %bb.174:                              ;   in Loop: Header=BB3_173 Depth=2
	v_dual_mov_b32 v11, v3 :: v_dual_add_nc_u32 v4, s9, v6
	v_mov_b32_e32 v12, v1
	s_mov_b32 s11, 0
	s_lshl_b32 s14, s9, 2
	s_delay_alu instid0(VALU_DEP_2)
	v_cmp_gt_i32_e32 vcc_lo, s25, v4
	s_set_inst_prefetch_distance 0x1
	s_branch .LBB3_176
	.p2align	6
.LBB3_175:                              ;   in Loop: Header=BB3_176 Depth=3
	s_or_b32 exec_lo, exec_lo, s15
	v_add_nc_u32_e32 v12, 16, v12
	v_add_nc_u32_e32 v11, 0x440, v11
	s_delay_alu instid0(VALU_DEP_2) | instskip(NEXT) | instid1(VALU_DEP_1)
	v_cmp_le_i32_e64 s2, s25, v12
	s_or_b32 s11, s2, s11
	s_delay_alu instid0(SALU_CYCLE_1)
	s_and_not1_b32 exec_lo, exec_lo, s11
	s_cbranch_execz .LBB3_172
.LBB3_176:                              ;   Parent Loop BB3_160 Depth=1
                                        ;     Parent Loop BB3_173 Depth=2
                                        ; =>    This Loop Header: Depth=3
                                        ;         Child Loop BB3_178 Depth 4
	s_and_saveexec_b32 s15, vcc_lo
	s_cbranch_execz .LBB3_175
; %bb.177:                              ;   in Loop: Header=BB3_176 Depth=3
	v_mul_lo_u32 v15, 0x44, v12
	v_dual_mov_b32 v13, v2 :: v_dual_mov_b32 v14, v11
	v_mov_b32_e32 v16, v4
	s_mov_b32 s16, 0
	s_delay_alu instid0(VALU_DEP_3)
	v_add3_u32 v15, 0x440, s14, v15
	.p2align	6
.LBB3_178:                              ;   Parent Loop BB3_160 Depth=1
                                        ;     Parent Loop BB3_173 Depth=2
                                        ;       Parent Loop BB3_176 Depth=3
                                        ; =>      This Inner Loop Header: Depth=4
	ds_load_b32 v17, v13
	ds_load_b32 v18, v15
	;; [unrolled: 1-line block ×3, first 2 shown]
	v_add_nc_u32_e32 v16, 4, v16
	v_add_nc_u32_e32 v13, 16, v13
	s_delay_alu instid0(VALU_DEP_2) | instskip(NEXT) | instid1(VALU_DEP_1)
	v_cmp_le_i32_e64 s2, s25, v16
	s_or_b32 s16, s2, s16
	s_waitcnt lgkmcnt(0)
	v_fma_f32 v17, -v17, v18, v19
	ds_store_b32 v14, v17
	v_add_nc_u32_e32 v14, 16, v14
	s_and_not1_b32 exec_lo, exec_lo, s16
	s_cbranch_execnz .LBB3_178
	s_branch .LBB3_175
.LBB3_179:                              ;   in Loop: Header=BB3_160 Depth=1
	s_waitcnt lgkmcnt(0)
	buffer_gl0_inv
	s_and_saveexec_b32 s9, s0
	s_cbranch_execz .LBB3_189
; %bb.180:                              ;   in Loop: Header=BB3_160 Depth=1
	v_dual_mov_b32 v11, v8 :: v_dual_mov_b32 v12, v7
	v_mov_b32_e32 v2, v1
	s_mov_b32 s10, 0
	s_set_inst_prefetch_distance 0x1
	s_branch .LBB3_182
	.p2align	6
.LBB3_181:                              ;   in Loop: Header=BB3_182 Depth=2
	s_or_b32 exec_lo, exec_lo, s11
	v_add_nc_u32_e32 v2, 16, v2
	v_add_nc_u32_e32 v12, s7, v12
	;; [unrolled: 1-line block ×3, first 2 shown]
	s_delay_alu instid0(VALU_DEP_3) | instskip(SKIP_1) | instid1(SALU_CYCLE_1)
	v_cmp_le_i32_e32 vcc_lo, s25, v2
	s_or_b32 s10, vcc_lo, s10
	s_and_not1_b32 exec_lo, exec_lo, s10
	s_cbranch_execz .LBB3_189
.LBB3_182:                              ;   Parent Loop BB3_160 Depth=1
                                        ; =>  This Loop Header: Depth=2
                                        ;       Child Loop BB3_185 Depth 3
	s_and_saveexec_b32 s11, s1
	s_cbranch_execz .LBB3_181
; %bb.183:                              ;   in Loop: Header=BB3_182 Depth=2
	v_dual_mov_b32 v13, v11 :: v_dual_mov_b32 v14, v5
	s_mov_b32 s14, 0
	s_branch .LBB3_185
	.p2align	6
.LBB3_184:                              ;   in Loop: Header=BB3_185 Depth=3
	s_delay_alu instid0(VALU_DEP_1) | instskip(SKIP_2) | instid1(VALU_DEP_3)
	v_ashrrev_i32_e32 v4, 31, v3
	v_add_nc_u32_e32 v14, 4, v14
	v_add_nc_u32_e32 v13, 0x110, v13
	v_lshlrev_b64 v[3:4], 2, v[3:4]
	s_delay_alu instid0(VALU_DEP_3) | instskip(SKIP_1) | instid1(VALU_DEP_2)
	v_cmp_le_i32_e32 vcc_lo, s25, v14
	s_or_b32 s14, vcc_lo, s14
	v_add_co_u32 v3, s2, s12, v3
	s_delay_alu instid0(VALU_DEP_1)
	v_add_co_ci_u32_e64 v4, s2, s13, v4, s2
	s_waitcnt lgkmcnt(0)
	global_store_b32 v[3:4], v15, off
	s_and_not1_b32 exec_lo, exec_lo, s14
	s_cbranch_execz .LBB3_181
.LBB3_185:                              ;   Parent Loop BB3_160 Depth=1
                                        ;     Parent Loop BB3_182 Depth=2
                                        ; =>    This Inner Loop Header: Depth=3
	ds_load_b32 v15, v13
	s_and_b32 vcc_lo, exec_lo, s4
	s_cbranch_vccz .LBB3_187
; %bb.186:                              ;   in Loop: Header=BB3_185 Depth=3
	v_add_nc_u32_e32 v16, s8, v14
	s_delay_alu instid0(VALU_DEP_1)
	v_mad_u64_u32 v[3:4], null, v16, s25, v[2:3]
	s_cbranch_execnz .LBB3_184
	s_branch .LBB3_188
	.p2align	6
.LBB3_187:                              ;   in Loop: Header=BB3_185 Depth=3
                                        ; implicit-def: $vgpr3
.LBB3_188:                              ;   in Loop: Header=BB3_185 Depth=3
	v_add_nc_u32_e32 v3, v12, v14
	s_branch .LBB3_184
.LBB3_189:                              ;   in Loop: Header=BB3_160 Depth=1
	s_set_inst_prefetch_distance 0x2
	s_or_b32 exec_lo, exec_lo, s9
; %bb.190:                              ;   in Loop: Header=BB3_160 Depth=1
	v_add_nc_u32_e32 v7, s6, v7
	s_add_i32 s3, s3, 1
	s_delay_alu instid0(SALU_CYCLE_1)
	s_cmp_ge_i32 s3, s33
	s_cbranch_scc0 .LBB3_160
.LBB3_191:
	s_waitcnt vmcnt(0)
	v_and_b32_e32 v1, 0x3ff, v0
	v_bfe_u32 v0, v0, 10, 10
	s_mov_b32 s0, exec_lo
	s_delay_alu instid0(VALU_DEP_1) | instskip(NEXT) | instid1(VALU_DEP_1)
	v_or_b32_e32 v0, v1, v0
	v_cmpx_eq_u32_e32 0, v0
	s_cbranch_execz .LBB3_195
; %bb.192:
	v_dual_mov_b32 v0, 0 :: v_dual_mov_b32 v1, 1
	s_add_u32 s0, s20, s26
	s_addc_u32 s1, s21, s27
	s_and_not1_b32 vcc_lo, exec_lo, s23
	s_waitcnt_vscnt null, 0x0
	global_store_b32 v0, v1, s[0:1]
	s_cbranch_vccnz .LBB3_195
; %bb.193:
	v_mbcnt_lo_u32_b32 v0, exec_lo, 0
	s_delay_alu instid0(VALU_DEP_1)
	v_cmp_eq_u32_e32 vcc_lo, 0, v0
	s_and_b32 exec_lo, exec_lo, vcc_lo
	s_cbranch_execz .LBB3_195
; %bb.194:
	s_add_i32 s0, s22, s24
	s_delay_alu instid0(SALU_CYCLE_1)
	v_dual_mov_b32 v0, 0 :: v_dual_mov_b32 v1, s0
	global_atomic_min_i32 v0, v1, s[18:19]
.LBB3_195:
	s_nop 0
	s_sendmsg sendmsg(MSG_DEALLOC_VGPRS)
	s_endpgm
	.section	.rodata,"a",@progbits
	.p2align	6, 0x0
	.amdhsa_kernel _ZN9rocsparseL12bsrilu0_9_32ILj64ELj64ELj16EfEEv20rocsparse_direction_iPKiS3_PT2_S3_iPiS3_S6_21rocsparse_index_base_imNS_24const_host_device_scalarIfEENS8_IdEENS8_IS4_EEb
		.amdhsa_group_segment_fixed_size 2176
		.amdhsa_private_segment_fixed_size 0
		.amdhsa_kernarg_size 116
		.amdhsa_user_sgpr_count 15
		.amdhsa_user_sgpr_dispatch_ptr 0
		.amdhsa_user_sgpr_queue_ptr 0
		.amdhsa_user_sgpr_kernarg_segment_ptr 1
		.amdhsa_user_sgpr_dispatch_id 0
		.amdhsa_user_sgpr_private_segment_size 0
		.amdhsa_wavefront_size32 1
		.amdhsa_uses_dynamic_stack 0
		.amdhsa_enable_private_segment 0
		.amdhsa_system_sgpr_workgroup_id_x 1
		.amdhsa_system_sgpr_workgroup_id_y 0
		.amdhsa_system_sgpr_workgroup_id_z 0
		.amdhsa_system_sgpr_workgroup_info 0
		.amdhsa_system_vgpr_workitem_id 1
		.amdhsa_next_free_vgpr 37
		.amdhsa_next_free_sgpr 52
		.amdhsa_reserve_vcc 1
		.amdhsa_float_round_mode_32 0
		.amdhsa_float_round_mode_16_64 0
		.amdhsa_float_denorm_mode_32 3
		.amdhsa_float_denorm_mode_16_64 3
		.amdhsa_dx10_clamp 1
		.amdhsa_ieee_mode 1
		.amdhsa_fp16_overflow 0
		.amdhsa_workgroup_processor_mode 1
		.amdhsa_memory_ordered 1
		.amdhsa_forward_progress 0
		.amdhsa_shared_vgpr_count 0
		.amdhsa_exception_fp_ieee_invalid_op 0
		.amdhsa_exception_fp_denorm_src 0
		.amdhsa_exception_fp_ieee_div_zero 0
		.amdhsa_exception_fp_ieee_overflow 0
		.amdhsa_exception_fp_ieee_underflow 0
		.amdhsa_exception_fp_ieee_inexact 0
		.amdhsa_exception_int_div_zero 0
	.end_amdhsa_kernel
	.section	.text._ZN9rocsparseL12bsrilu0_9_32ILj64ELj64ELj16EfEEv20rocsparse_direction_iPKiS3_PT2_S3_iPiS3_S6_21rocsparse_index_base_imNS_24const_host_device_scalarIfEENS8_IdEENS8_IS4_EEb,"axG",@progbits,_ZN9rocsparseL12bsrilu0_9_32ILj64ELj64ELj16EfEEv20rocsparse_direction_iPKiS3_PT2_S3_iPiS3_S6_21rocsparse_index_base_imNS_24const_host_device_scalarIfEENS8_IdEENS8_IS4_EEb,comdat
.Lfunc_end3:
	.size	_ZN9rocsparseL12bsrilu0_9_32ILj64ELj64ELj16EfEEv20rocsparse_direction_iPKiS3_PT2_S3_iPiS3_S6_21rocsparse_index_base_imNS_24const_host_device_scalarIfEENS8_IdEENS8_IS4_EEb, .Lfunc_end3-_ZN9rocsparseL12bsrilu0_9_32ILj64ELj64ELj16EfEEv20rocsparse_direction_iPKiS3_PT2_S3_iPiS3_S6_21rocsparse_index_base_imNS_24const_host_device_scalarIfEENS8_IdEENS8_IS4_EEb
                                        ; -- End function
	.section	.AMDGPU.csdata,"",@progbits
; Kernel info:
; codeLenInByte = 6084
; NumSgprs: 54
; NumVgprs: 37
; ScratchSize: 0
; MemoryBound: 0
; FloatMode: 240
; IeeeMode: 1
; LDSByteSize: 2176 bytes/workgroup (compile time only)
; SGPRBlocks: 6
; VGPRBlocks: 4
; NumSGPRsForWavesPerEU: 54
; NumVGPRsForWavesPerEU: 37
; Occupancy: 16
; WaveLimiterHint : 1
; COMPUTE_PGM_RSRC2:SCRATCH_EN: 0
; COMPUTE_PGM_RSRC2:USER_SGPR: 15
; COMPUTE_PGM_RSRC2:TRAP_HANDLER: 0
; COMPUTE_PGM_RSRC2:TGID_X_EN: 1
; COMPUTE_PGM_RSRC2:TGID_Y_EN: 0
; COMPUTE_PGM_RSRC2:TGID_Z_EN: 0
; COMPUTE_PGM_RSRC2:TIDIG_COMP_CNT: 1
	.section	.text._ZN9rocsparseL12bsrilu0_9_32ILj64ELj64ELj32EfEEv20rocsparse_direction_iPKiS3_PT2_S3_iPiS3_S6_21rocsparse_index_base_imNS_24const_host_device_scalarIfEENS8_IdEENS8_IS4_EEb,"axG",@progbits,_ZN9rocsparseL12bsrilu0_9_32ILj64ELj64ELj32EfEEv20rocsparse_direction_iPKiS3_PT2_S3_iPiS3_S6_21rocsparse_index_base_imNS_24const_host_device_scalarIfEENS8_IdEENS8_IS4_EEb,comdat
	.globl	_ZN9rocsparseL12bsrilu0_9_32ILj64ELj64ELj32EfEEv20rocsparse_direction_iPKiS3_PT2_S3_iPiS3_S6_21rocsparse_index_base_imNS_24const_host_device_scalarIfEENS8_IdEENS8_IS4_EEb ; -- Begin function _ZN9rocsparseL12bsrilu0_9_32ILj64ELj64ELj32EfEEv20rocsparse_direction_iPKiS3_PT2_S3_iPiS3_S6_21rocsparse_index_base_imNS_24const_host_device_scalarIfEENS8_IdEENS8_IS4_EEb
	.p2align	8
	.type	_ZN9rocsparseL12bsrilu0_9_32ILj64ELj64ELj32EfEEv20rocsparse_direction_iPKiS3_PT2_S3_iPiS3_S6_21rocsparse_index_base_imNS_24const_host_device_scalarIfEENS8_IdEENS8_IS4_EEb,@function
_ZN9rocsparseL12bsrilu0_9_32ILj64ELj64ELj32EfEEv20rocsparse_direction_iPKiS3_PT2_S3_iPiS3_S6_21rocsparse_index_base_imNS_24const_host_device_scalarIfEENS8_IdEENS8_IS4_EEb: ; @_ZN9rocsparseL12bsrilu0_9_32ILj64ELj64ELj32EfEEv20rocsparse_direction_iPKiS3_PT2_S3_iPiS3_S6_21rocsparse_index_base_imNS_24const_host_device_scalarIfEENS8_IdEENS8_IS4_EEb
; %bb.0:
	s_clause 0x2
	s_load_b32 s3, s[0:1], 0x70
	s_load_b64 s[24:25], s[0:1], 0x48
	s_load_b256 s[16:23], s[0:1], 0x50
	s_mov_b32 s2, s15
	s_waitcnt lgkmcnt(0)
	s_bitcmp1_b32 s3, 0
	s_cselect_b32 s3, -1, 0
	s_cmp_lg_u32 s25, 0
	s_cselect_b32 s36, -1, 0
	s_cmp_eq_u32 s25, 0
	s_cselect_b32 s6, -1, 0
	s_delay_alu instid0(SALU_CYCLE_1) | instskip(SKIP_3) | instid1(SALU_CYCLE_1)
	s_and_b32 s4, s6, exec_lo
	s_cselect_b32 s4, 0, s20
	s_cselect_b32 s5, 0, s21
	s_or_b32 s3, s6, s3
	s_and_b32 vcc_lo, exec_lo, s3
	s_xor_b32 s3, s3, -1
	s_cbranch_vccnz .LBB4_2
; %bb.1:
	s_load_b32 s4, s[18:19], 0x0
	s_waitcnt lgkmcnt(0)
	v_mov_b32_e32 v13, s4
	s_mov_b64 s[4:5], s[20:21]
	s_branch .LBB4_3
.LBB4_2:
	v_cndmask_b32_e64 v13, s18, 0, s6
.LBB4_3:
	v_cndmask_b32_e64 v3, 0, 1, s3
	v_dual_mov_b32 v1, s4 :: v_dual_mov_b32 v2, s5
	s_and_not1_b32 vcc_lo, exec_lo, s3
	s_cbranch_vccnz .LBB4_5
; %bb.4:
	v_dual_mov_b32 v1, s20 :: v_dual_mov_b32 v2, s21
	flat_load_b64 v[1:2], v[1:2]
.LBB4_5:
	s_delay_alu instid0(VALU_DEP_2)
	v_cmp_ne_u32_e32 vcc_lo, 1, v3
	s_mov_b32 s3, 0
	s_cbranch_vccnz .LBB4_7
; %bb.6:
	s_load_b32 s4, s[22:23], 0x0
	s_waitcnt lgkmcnt(0)
	v_mov_b32_e32 v12, s4
	s_branch .LBB4_8
.LBB4_7:
	v_cndmask_b32_e64 v12, s22, 0, s6
.LBB4_8:
	s_clause 0x1
	s_load_b128 s[20:23], s[0:1], 0x30
	s_load_b64 s[18:19], s[0:1], 0x40
	s_lshl_b64 s[2:3], s[2:3], 2
	s_waitcnt lgkmcnt(0)
	s_add_u32 s2, s22, s2
	s_addc_u32 s3, s23, s3
	s_load_b32 s22, s[2:3], 0x0
	s_load_b256 s[8:15], s[0:1], 0x8
	s_waitcnt lgkmcnt(0)
	s_ashr_i32 s23, s22, 31
	s_delay_alu instid0(SALU_CYCLE_1) | instskip(NEXT) | instid1(SALU_CYCLE_1)
	s_lshl_b64 s[26:27], s[22:23], 2
	s_add_u32 s2, s14, s26
	s_addc_u32 s3, s15, s27
	s_load_b32 s28, s[2:3], 0x0
	s_waitcnt lgkmcnt(0)
	s_cmp_eq_u32 s28, -1
	s_cbranch_scc1 .LBB4_124
; %bb.9:
	s_add_u32 s2, s8, s26
	s_addc_u32 s3, s9, s27
	s_mov_b32 s23, 0
	s_load_b64 s[2:3], s[2:3], 0x0
	s_clause 0x1
	s_load_b64 s[30:31], s[0:1], 0x0
	s_load_b32 s25, s[0:1], 0x28
	s_waitcnt lgkmcnt(0)
	s_sub_i32 s34, s2, s24
	s_sub_i32 s33, s3, s24
	s_cmp_ge_i32 s34, s28
	s_cbranch_scc1 .LBB4_113
; %bb.10:
	v_bfe_u32 v14, v0, 10, 10
	v_dual_mov_b32 v24, 0 :: v_dual_and_b32 v3, 0x3ff, v0
	s_cmp_lg_u32 s30, 0
	s_movk_i32 s5, 0x10c
	s_delay_alu instid0(VALU_DEP_2) | instskip(NEXT) | instid1(VALU_DEP_2)
	v_lshlrev_b32_e32 v4, 5, v14
	v_lshlrev_b32_e32 v9, 2, v3
	s_cselect_b32 s29, -1, 0
	s_cmp_gt_i32 s25, 0
	v_cmp_gt_i32_e64 s0, s25, v3
	v_add3_u32 v4, v4, v3, s34
	s_cselect_b32 s37, -1, 0
	s_add_i32 s31, s31, 1
	s_cmp_lg_u32 s25, 1
	v_mad_u32_u24 v16, 0x84, v14, v9
	v_ashrrev_i32_e32 v5, 31, v4
	v_mad_u64_u32 v[7:8], null, s25, s34, v[3:4]
	s_cselect_b32 s38, -1, 0
	s_and_b32 s39, s25, 0x7ffffffe
	s_delay_alu instid0(VALU_DEP_2) | instskip(SKIP_3) | instid1(VALU_DEP_4)
	v_lshlrev_b64 v[5:6], 2, v[4:5]
	s_bitcmp1_b32 s25, 0
	v_cmp_le_i32_e64 s1, s25, v3
	v_cmp_gt_i32_e64 s2, s25, v14
	v_mul_lo_u32 v17, s25, v7
	v_cmp_eq_u32_e64 s3, 0, v14
	v_add_co_u32 v5, vcc_lo, s10, v5
	v_add_nc_u32_e32 v15, 1, v14
	v_cmp_gt_i32_e64 s4, s33, v4
	v_add_co_ci_u32_e32 v6, vcc_lo, s11, v6, vcc_lo
	s_cselect_b32 s40, -1, 0
	s_add_u32 s8, s8, 4
	v_mul_u32_u24_e32 v18, 0x84, v14
	v_add_nc_u32_e32 v19, 0x1080, v16
	v_add_nc_u32_e32 v20, 0x1104, v16
	v_mad_u32_u24 v7, 0x84, v14, 0x84
	v_mad_u32_u24 v21, 0x84, v14, s5
	v_add_nc_u32_e32 v22, 0x1188, v16
	v_add_nc_u32_e32 v8, 0x1104, v9
	;; [unrolled: 1-line block ×3, first 2 shown]
	s_addc_u32 s9, s9, 0
	s_add_u32 s41, s10, 0x100
	s_addc_u32 s42, s11, 0
	s_mul_i32 s43, s25, s25
	s_lshl_b32 s44, s25, 5
	s_branch .LBB4_13
.LBB4_11:                               ;   in Loop: Header=BB4_13 Depth=1
	s_mov_b32 s23, -1
.LBB4_12:                               ;   in Loop: Header=BB4_13 Depth=1
	s_add_i32 s34, s34, 1
	v_add_nc_u32_e32 v17, s43, v17
	s_cmp_lt_i32 s34, s28
	s_cselect_b32 s6, -1, 0
	s_delay_alu instid0(SALU_CYCLE_1) | instskip(NEXT) | instid1(SALU_CYCLE_1)
	s_and_b32 s5, s5, s6
	s_and_b32 vcc_lo, exec_lo, s5
	s_cbranch_vccz .LBB4_113
.LBB4_13:                               ; =>This Loop Header: Depth=1
                                        ;     Child Loop BB4_16 Depth 2
                                        ;       Child Loop BB4_19 Depth 3
                                        ;     Child Loop BB4_25 Depth 2
                                        ;     Child Loop BB4_29 Depth 2
                                        ;       Child Loop BB4_32 Depth 3
                                        ;     Child Loop BB4_40 Depth 2
                                        ;       Child Loop BB4_43 Depth 3
                                        ;         Child Loop BB4_47 Depth 4
                                        ;       Child Loop BB4_51 Depth 3
                                        ;         Child Loop BB4_55 Depth 4
                                        ;     Child Loop BB4_60 Depth 2
                                        ;       Child Loop BB4_64 Depth 3
                                        ;     Child Loop BB4_69 Depth 2
                                        ;       Child Loop BB4_72 Depth 3
	;; [unrolled: 2-line block ×3, first 2 shown]
                                        ;       Child Loop BB4_95 Depth 3
                                        ;         Child Loop BB4_98 Depth 4
                                        ;       Child Loop BB4_104 Depth 3
                                        ;         Child Loop BB4_107 Depth 4
                                        ;           Child Loop BB4_108 Depth 5
	s_ashr_i32 s35, s34, 31
	s_delay_alu instid0(SALU_CYCLE_1) | instskip(NEXT) | instid1(SALU_CYCLE_1)
	s_lshl_b64 s[6:7], s[34:35], 2
	s_add_u32 s6, s10, s6
	s_addc_u32 s7, s11, s7
	global_load_b32 v9, v24, s[6:7]
	s_waitcnt vmcnt(0)
	v_readfirstlane_b32 s5, v9
	s_and_saveexec_b32 s6, s0
	s_cbranch_execz .LBB4_23
; %bb.14:                               ;   in Loop: Header=BB4_13 Depth=1
	v_dual_mov_b32 v25, v19 :: v_dual_mov_b32 v26, v17
	v_mov_b32_e32 v9, v3
	s_mul_i32 s7, s34, s25
	s_mov_b32 s35, 0
	s_set_inst_prefetch_distance 0x1
	s_branch .LBB4_16
	.p2align	6
.LBB4_15:                               ;   in Loop: Header=BB4_16 Depth=2
	s_or_b32 exec_lo, exec_lo, s45
	v_add_nc_u32_e32 v9, 32, v9
	v_add_nc_u32_e32 v26, s44, v26
	;; [unrolled: 1-line block ×3, first 2 shown]
	s_delay_alu instid0(VALU_DEP_3) | instskip(SKIP_1) | instid1(SALU_CYCLE_1)
	v_cmp_le_i32_e32 vcc_lo, s25, v9
	s_or_b32 s35, vcc_lo, s35
	s_and_not1_b32 exec_lo, exec_lo, s35
	s_cbranch_execz .LBB4_23
.LBB4_16:                               ;   Parent Loop BB4_13 Depth=1
                                        ; =>  This Loop Header: Depth=2
                                        ;       Child Loop BB4_19 Depth 3
	s_and_saveexec_b32 s45, s2
	s_cbranch_execz .LBB4_15
; %bb.17:                               ;   in Loop: Header=BB4_16 Depth=2
	v_dual_mov_b32 v27, v25 :: v_dual_mov_b32 v28, v14
	s_mov_b32 s46, 0
	s_branch .LBB4_19
	.p2align	6
.LBB4_18:                               ;   in Loop: Header=BB4_19 Depth=3
	s_delay_alu instid0(VALU_DEP_1) | instskip(SKIP_1) | instid1(VALU_DEP_2)
	v_ashrrev_i32_e32 v11, 31, v10
	v_add_nc_u32_e32 v28, 2, v28
	v_lshlrev_b64 v[10:11], 2, v[10:11]
	s_delay_alu instid0(VALU_DEP_1) | instskip(NEXT) | instid1(VALU_DEP_2)
	v_add_co_u32 v10, vcc_lo, s12, v10
	v_add_co_ci_u32_e32 v11, vcc_lo, s13, v11, vcc_lo
	s_delay_alu instid0(VALU_DEP_4)
	v_cmp_le_i32_e32 vcc_lo, s25, v28
	global_load_b32 v10, v[10:11], off
	s_or_b32 s46, vcc_lo, s46
	s_waitcnt vmcnt(0)
	ds_store_b32 v27, v10
	v_add_nc_u32_e32 v27, 0x108, v27
	s_and_not1_b32 exec_lo, exec_lo, s46
	s_cbranch_execz .LBB4_15
.LBB4_19:                               ;   Parent Loop BB4_13 Depth=1
                                        ;     Parent Loop BB4_16 Depth=2
                                        ; =>    This Inner Loop Header: Depth=3
	s_and_b32 vcc_lo, exec_lo, s29
	s_cbranch_vccz .LBB4_21
; %bb.20:                               ;   in Loop: Header=BB4_19 Depth=3
	v_add_nc_u32_e32 v29, s7, v28
	s_delay_alu instid0(VALU_DEP_1)
	v_mad_u64_u32 v[10:11], null, v29, s25, v[9:10]
	s_cbranch_execnz .LBB4_18
	s_branch .LBB4_22
	.p2align	6
.LBB4_21:                               ;   in Loop: Header=BB4_19 Depth=3
                                        ; implicit-def: $vgpr10
.LBB4_22:                               ;   in Loop: Header=BB4_19 Depth=3
	v_add_nc_u32_e32 v10, v26, v28
	s_branch .LBB4_18
.LBB4_23:                               ;   in Loop: Header=BB4_13 Depth=1
	s_set_inst_prefetch_distance 0x2
	s_or_b32 exec_lo, exec_lo, s6
	s_sub_i32 s6, s5, s24
	s_delay_alu instid0(SALU_CYCLE_1) | instskip(NEXT) | instid1(SALU_CYCLE_1)
	s_ashr_i32 s7, s6, 31
	s_lshl_b64 s[6:7], s[6:7], 2
	s_delay_alu instid0(SALU_CYCLE_1)
	s_add_u32 s46, s14, s6
	s_addc_u32 s47, s15, s7
	global_load_b32 v9, v24, s[46:47]
	s_waitcnt vmcnt(0)
	v_cmp_eq_u32_e32 vcc_lo, -1, v9
	v_readfirstlane_b32 s35, v9
	v_cmp_ne_u32_e64 s5, -1, v9
	s_cbranch_vccnz .LBB4_11
; %bb.24:                               ;   in Loop: Header=BB4_13 Depth=1
	s_add_u32 s46, s8, s6
	s_addc_u32 s47, s9, s7
	s_add_u32 s6, s20, s6
	global_load_b32 v9, v24, s[46:47]
	s_addc_u32 s7, s21, s7
	s_waitcnt vmcnt(0)
	v_readfirstlane_b32 s45, v9
.LBB4_25:                               ;   Parent Loop BB4_13 Depth=1
                                        ; =>  This Inner Loop Header: Depth=2
	global_load_b32 v9, v24, s[6:7] glc
	s_waitcnt vmcnt(0)
	v_cmp_eq_u32_e32 vcc_lo, 0, v9
	s_cbranch_vccnz .LBB4_25
; %bb.26:                               ;   in Loop: Header=BB4_13 Depth=1
	s_waitcnt lgkmcnt(0)
	buffer_gl1_inv
	buffer_gl0_inv
	s_and_saveexec_b32 s6, s0
	s_cbranch_execz .LBB4_36
; %bb.27:                               ;   in Loop: Header=BB4_13 Depth=1
	s_mul_i32 s7, s35, s25
	s_mov_b32 s46, 0
	v_dual_mov_b32 v26, v16 :: v_dual_add_nc_u32 v9, s7, v3
	s_delay_alu instid0(VALU_DEP_1)
	v_mul_lo_u32 v25, s25, v9
	v_mov_b32_e32 v9, v3
	s_set_inst_prefetch_distance 0x1
	s_branch .LBB4_29
	.p2align	6
.LBB4_28:                               ;   in Loop: Header=BB4_29 Depth=2
	s_or_b32 exec_lo, exec_lo, s47
	v_add_nc_u32_e32 v9, 32, v9
	v_add_nc_u32_e32 v25, s44, v25
	;; [unrolled: 1-line block ×3, first 2 shown]
	s_delay_alu instid0(VALU_DEP_3) | instskip(SKIP_1) | instid1(SALU_CYCLE_1)
	v_cmp_le_i32_e32 vcc_lo, s25, v9
	s_or_b32 s46, vcc_lo, s46
	s_and_not1_b32 exec_lo, exec_lo, s46
	s_cbranch_execz .LBB4_36
.LBB4_29:                               ;   Parent Loop BB4_13 Depth=1
                                        ; =>  This Loop Header: Depth=2
                                        ;       Child Loop BB4_32 Depth 3
	s_and_saveexec_b32 s47, s2
	s_cbranch_execz .LBB4_28
; %bb.30:                               ;   in Loop: Header=BB4_29 Depth=2
	v_mov_b32_e32 v27, v26
	v_mov_b32_e32 v28, v14
	s_mov_b32 s48, 0
	s_branch .LBB4_32
	.p2align	6
.LBB4_31:                               ;   in Loop: Header=BB4_32 Depth=3
	s_delay_alu instid0(VALU_DEP_1) | instskip(SKIP_1) | instid1(VALU_DEP_2)
	v_ashrrev_i32_e32 v11, 31, v10
	v_add_nc_u32_e32 v28, 2, v28
	v_lshlrev_b64 v[10:11], 2, v[10:11]
	s_delay_alu instid0(VALU_DEP_1) | instskip(NEXT) | instid1(VALU_DEP_2)
	v_add_co_u32 v10, vcc_lo, s12, v10
	v_add_co_ci_u32_e32 v11, vcc_lo, s13, v11, vcc_lo
	s_delay_alu instid0(VALU_DEP_4)
	v_cmp_le_i32_e32 vcc_lo, s25, v28
	global_load_b32 v10, v[10:11], off
	s_or_b32 s48, vcc_lo, s48
	s_waitcnt vmcnt(0)
	ds_store_b32 v27, v10
	v_add_nc_u32_e32 v27, 0x108, v27
	s_and_not1_b32 exec_lo, exec_lo, s48
	s_cbranch_execz .LBB4_28
.LBB4_32:                               ;   Parent Loop BB4_13 Depth=1
                                        ;     Parent Loop BB4_29 Depth=2
                                        ; =>    This Inner Loop Header: Depth=3
	s_and_b32 vcc_lo, exec_lo, s29
	s_cbranch_vccz .LBB4_34
; %bb.33:                               ;   in Loop: Header=BB4_32 Depth=3
	v_add_nc_u32_e32 v29, s7, v28
	s_delay_alu instid0(VALU_DEP_1)
	v_mad_u64_u32 v[10:11], null, v29, s25, v[9:10]
	s_cbranch_execnz .LBB4_31
	s_branch .LBB4_35
	.p2align	6
.LBB4_34:                               ;   in Loop: Header=BB4_32 Depth=3
                                        ; implicit-def: $vgpr10
.LBB4_35:                               ;   in Loop: Header=BB4_32 Depth=3
	v_add_nc_u32_e32 v10, v25, v28
	s_branch .LBB4_31
.LBB4_36:                               ;   in Loop: Header=BB4_13 Depth=1
	s_set_inst_prefetch_distance 0x2
	s_or_b32 exec_lo, exec_lo, s6
	s_delay_alu instid0(SALU_CYCLE_1)
	s_and_not1_b32 vcc_lo, exec_lo, s37
	s_waitcnt lgkmcnt(0)
	buffer_gl0_inv
	s_cbranch_vccnz .LBB4_66
; %bb.37:                               ;   in Loop: Header=BB4_13 Depth=1
	s_and_not1_b32 vcc_lo, exec_lo, s38
	s_mov_b32 s6, 0
	s_cbranch_vccnz .LBB4_56
; %bb.38:                               ;   in Loop: Header=BB4_13 Depth=1
	v_dual_mov_b32 v9, v22 :: v_dual_mov_b32 v10, v21
	v_mov_b32_e32 v11, v7
	v_mov_b32_e32 v25, v20
	s_mov_b32 s7, 0
	s_branch .LBB4_40
.LBB4_39:                               ;   in Loop: Header=BB4_40 Depth=2
	s_or_b32 exec_lo, exec_lo, s48
	v_add_nc_u32_e32 v25, 0x108, v25
	v_add_nc_u32_e32 v11, 0x110, v11
	v_add_nc_u32_e32 v10, 0x110, v10
	v_add_nc_u32_e32 v9, 0x108, v9
	s_add_i32 s7, s7, 2
	s_mov_b32 s6, s39
	s_cmp_eq_u32 s7, s39
	s_waitcnt lgkmcnt(0)
	buffer_gl0_inv
	s_cbranch_scc1 .LBB4_56
.LBB4_40:                               ;   Parent Loop BB4_13 Depth=1
                                        ; =>  This Loop Header: Depth=2
                                        ;       Child Loop BB4_43 Depth 3
                                        ;         Child Loop BB4_47 Depth 4
                                        ;       Child Loop BB4_51 Depth 3
                                        ;         Child Loop BB4_55 Depth 4
	s_lshl_b32 s6, s7, 2
	s_mul_i32 s46, s7, 0x84
	s_delay_alu instid0(SALU_CYCLE_1)
	s_add_i32 s47, s46, s6
	s_and_saveexec_b32 s48, s0
	s_cbranch_execz .LBB4_48
; %bb.41:                               ;   in Loop: Header=BB4_40 Depth=2
	v_dual_mov_b32 v26, s47 :: v_dual_add_nc_u32 v27, s7, v15
	v_dual_mov_b32 v28, v25 :: v_dual_mov_b32 v29, v3
	s_mov_b32 s49, 0
	ds_load_b32 v26, v26
	v_cmp_gt_i32_e64 s6, s25, v27
	s_branch .LBB4_43
.LBB4_42:                               ;   in Loop: Header=BB4_43 Depth=3
	s_or_b32 exec_lo, exec_lo, s50
	v_add_nc_u32_e32 v29, 32, v29
	v_add_nc_u32_e32 v28, 0x80, v28
	s_delay_alu instid0(VALU_DEP_2) | instskip(SKIP_1) | instid1(SALU_CYCLE_1)
	v_cmp_le_i32_e32 vcc_lo, s25, v29
	s_or_b32 s49, vcc_lo, s49
	s_and_not1_b32 exec_lo, exec_lo, s49
	s_cbranch_execz .LBB4_48
.LBB4_43:                               ;   Parent Loop BB4_13 Depth=1
                                        ;     Parent Loop BB4_40 Depth=2
                                        ; =>    This Loop Header: Depth=3
                                        ;         Child Loop BB4_47 Depth 4
	v_lshl_add_u32 v31, v29, 2, s46
	ds_load_b32 v30, v31 offset:4224
	s_waitcnt lgkmcnt(0)
	buffer_gl0_inv
	v_div_scale_f32 v32, null, v26, v26, v30
	s_delay_alu instid0(VALU_DEP_1) | instskip(SKIP_2) | instid1(VALU_DEP_1)
	v_rcp_f32_e32 v33, v32
	s_waitcnt_depctr 0xfff
	v_fma_f32 v34, -v32, v33, 1.0
	v_fmac_f32_e32 v33, v34, v33
	v_div_scale_f32 v34, vcc_lo, v30, v26, v30
	s_delay_alu instid0(VALU_DEP_1) | instskip(NEXT) | instid1(VALU_DEP_1)
	v_mul_f32_e32 v35, v34, v33
	v_fma_f32 v36, -v32, v35, v34
	s_delay_alu instid0(VALU_DEP_1) | instskip(NEXT) | instid1(VALU_DEP_1)
	v_fmac_f32_e32 v35, v36, v33
	v_fma_f32 v32, -v32, v35, v34
	s_delay_alu instid0(VALU_DEP_1) | instskip(NEXT) | instid1(VALU_DEP_1)
	v_div_fmas_f32 v32, v32, v33, v35
	v_div_fixup_f32 v30, v32, v26, v30
	s_and_saveexec_b32 s50, s3
	s_cbranch_execz .LBB4_45
; %bb.44:                               ;   in Loop: Header=BB4_43 Depth=3
	v_add_nc_u32_e32 v31, 0x1080, v31
	ds_store_b32 v31, v30
.LBB4_45:                               ;   in Loop: Header=BB4_43 Depth=3
	s_or_b32 exec_lo, exec_lo, s50
	s_and_saveexec_b32 s50, s6
	s_cbranch_execz .LBB4_42
; %bb.46:                               ;   in Loop: Header=BB4_43 Depth=3
	v_dual_mov_b32 v31, v11 :: v_dual_mov_b32 v32, v28
	v_mov_b32_e32 v33, v27
	s_mov_b32 s51, 0
	.p2align	6
.LBB4_47:                               ;   Parent Loop BB4_13 Depth=1
                                        ;     Parent Loop BB4_40 Depth=2
                                        ;       Parent Loop BB4_43 Depth=3
                                        ; =>      This Inner Loop Header: Depth=4
	ds_load_b32 v34, v31
	ds_load_b32 v35, v32
	v_add_nc_u32_e32 v33, 2, v33
	v_add_nc_u32_e32 v31, 0x108, v31
	s_delay_alu instid0(VALU_DEP_2)
	v_cmp_le_i32_e32 vcc_lo, s25, v33
	s_or_b32 s51, vcc_lo, s51
	s_waitcnt lgkmcnt(0)
	v_fma_f32 v34, -v30, v34, v35
	ds_store_b32 v32, v34
	v_add_nc_u32_e32 v32, 0x108, v32
	s_and_not1_b32 exec_lo, exec_lo, s51
	s_cbranch_execnz .LBB4_47
	s_branch .LBB4_42
.LBB4_48:                               ;   in Loop: Header=BB4_40 Depth=2
	s_or_b32 exec_lo, exec_lo, s48
	s_waitcnt lgkmcnt(0)
	buffer_gl0_inv
	s_and_saveexec_b32 s48, s0
	s_cbranch_execz .LBB4_39
; %bb.49:                               ;   in Loop: Header=BB4_40 Depth=2
	v_dual_mov_b32 v26, s47 :: v_dual_mov_b32 v29, v3
	v_add3_u32 v27, v15, s7, 1
	v_mov_b32_e32 v28, v9
	s_mov_b32 s47, 0
	ds_load_b32 v26, v26 offset:136
	v_cmp_gt_i32_e64 s6, s25, v27
	s_branch .LBB4_51
.LBB4_50:                               ;   in Loop: Header=BB4_51 Depth=3
	s_or_b32 exec_lo, exec_lo, s49
	v_add_nc_u32_e32 v29, 32, v29
	v_add_nc_u32_e32 v28, 0x80, v28
	s_delay_alu instid0(VALU_DEP_2) | instskip(SKIP_1) | instid1(SALU_CYCLE_1)
	v_cmp_le_i32_e32 vcc_lo, s25, v29
	s_or_b32 s47, vcc_lo, s47
	s_and_not1_b32 exec_lo, exec_lo, s47
	s_cbranch_execz .LBB4_39
.LBB4_51:                               ;   Parent Loop BB4_13 Depth=1
                                        ;     Parent Loop BB4_40 Depth=2
                                        ; =>    This Loop Header: Depth=3
                                        ;         Child Loop BB4_55 Depth 4
	v_lshl_add_u32 v31, v29, 2, s46
	ds_load_b32 v30, v31 offset:4356
	s_waitcnt lgkmcnt(0)
	buffer_gl0_inv
	v_div_scale_f32 v32, null, v26, v26, v30
	s_delay_alu instid0(VALU_DEP_1) | instskip(SKIP_2) | instid1(VALU_DEP_1)
	v_rcp_f32_e32 v33, v32
	s_waitcnt_depctr 0xfff
	v_fma_f32 v34, -v32, v33, 1.0
	v_fmac_f32_e32 v33, v34, v33
	v_div_scale_f32 v34, vcc_lo, v30, v26, v30
	s_delay_alu instid0(VALU_DEP_1) | instskip(NEXT) | instid1(VALU_DEP_1)
	v_mul_f32_e32 v35, v34, v33
	v_fma_f32 v36, -v32, v35, v34
	s_delay_alu instid0(VALU_DEP_1) | instskip(NEXT) | instid1(VALU_DEP_1)
	v_fmac_f32_e32 v35, v36, v33
	v_fma_f32 v32, -v32, v35, v34
	s_delay_alu instid0(VALU_DEP_1) | instskip(NEXT) | instid1(VALU_DEP_1)
	v_div_fmas_f32 v32, v32, v33, v35
	v_div_fixup_f32 v30, v32, v26, v30
	s_and_saveexec_b32 s49, s3
	s_cbranch_execz .LBB4_53
; %bb.52:                               ;   in Loop: Header=BB4_51 Depth=3
	v_add_nc_u32_e32 v31, 0x1104, v31
	ds_store_b32 v31, v30
.LBB4_53:                               ;   in Loop: Header=BB4_51 Depth=3
	s_or_b32 exec_lo, exec_lo, s49
	s_and_saveexec_b32 s49, s6
	s_cbranch_execz .LBB4_50
; %bb.54:                               ;   in Loop: Header=BB4_51 Depth=3
	v_dual_mov_b32 v31, v28 :: v_dual_mov_b32 v32, v10
	v_mov_b32_e32 v33, v27
	s_mov_b32 s50, 0
	.p2align	6
.LBB4_55:                               ;   Parent Loop BB4_13 Depth=1
                                        ;     Parent Loop BB4_40 Depth=2
                                        ;       Parent Loop BB4_51 Depth=3
                                        ; =>      This Inner Loop Header: Depth=4
	ds_load_b32 v34, v32
	ds_load_b32 v35, v31
	v_add_nc_u32_e32 v33, 2, v33
	v_add_nc_u32_e32 v32, 0x108, v32
	s_delay_alu instid0(VALU_DEP_2)
	v_cmp_le_i32_e32 vcc_lo, s25, v33
	s_or_b32 s50, vcc_lo, s50
	s_waitcnt lgkmcnt(0)
	v_fma_f32 v34, -v30, v34, v35
	ds_store_b32 v31, v34
	v_add_nc_u32_e32 v31, 0x108, v31
	s_and_not1_b32 exec_lo, exec_lo, s50
	s_cbranch_execnz .LBB4_55
	s_branch .LBB4_50
.LBB4_56:                               ;   in Loop: Header=BB4_13 Depth=1
	s_and_not1_b32 vcc_lo, exec_lo, s40
	s_cbranch_vccnz .LBB4_66
; %bb.57:                               ;   in Loop: Header=BB4_13 Depth=1
	s_and_saveexec_b32 s7, s0
	s_cbranch_execz .LBB4_65
; %bb.58:                               ;   in Loop: Header=BB4_13 Depth=1
	s_lshl_b32 s47, s6, 2
	s_mul_i32 s46, s6, 0x84
	v_add_nc_u32_e32 v11, s6, v14
	s_add_i32 s47, s46, s47
	s_delay_alu instid0(SALU_CYCLE_1)
	v_dual_mov_b32 v9, s47 :: v_dual_add_nc_u32 v26, s6, v15
	s_mov_b32 s47, 0
	ds_load_b32 v25, v9
	v_mad_u64_u32 v[9:10], null, 0x84, v11, v[8:9]
	v_mad_u64_u32 v[10:11], null, 0x88, s6, v[7:8]
	v_cmp_gt_i32_e64 s6, s25, v26
	v_mov_b32_e32 v11, v3
	s_branch .LBB4_60
.LBB4_59:                               ;   in Loop: Header=BB4_60 Depth=2
	s_or_b32 exec_lo, exec_lo, s48
	v_add_nc_u32_e32 v11, 32, v11
	v_add_nc_u32_e32 v9, 0x80, v9
	s_delay_alu instid0(VALU_DEP_2) | instskip(SKIP_1) | instid1(SALU_CYCLE_1)
	v_cmp_le_i32_e32 vcc_lo, s25, v11
	s_or_b32 s47, vcc_lo, s47
	s_and_not1_b32 exec_lo, exec_lo, s47
	s_cbranch_execz .LBB4_65
.LBB4_60:                               ;   Parent Loop BB4_13 Depth=1
                                        ; =>  This Loop Header: Depth=2
                                        ;       Child Loop BB4_64 Depth 3
	s_delay_alu instid0(VALU_DEP_1) | instskip(SKIP_4) | instid1(VALU_DEP_1)
	v_lshl_add_u32 v28, v11, 2, s46
	ds_load_b32 v27, v28 offset:4224
	s_waitcnt lgkmcnt(0)
	buffer_gl0_inv
	v_div_scale_f32 v29, null, v25, v25, v27
	v_rcp_f32_e32 v30, v29
	s_waitcnt_depctr 0xfff
	v_fma_f32 v31, -v29, v30, 1.0
	s_delay_alu instid0(VALU_DEP_1) | instskip(SKIP_1) | instid1(VALU_DEP_1)
	v_fmac_f32_e32 v30, v31, v30
	v_div_scale_f32 v31, vcc_lo, v27, v25, v27
	v_mul_f32_e32 v32, v31, v30
	s_delay_alu instid0(VALU_DEP_1) | instskip(NEXT) | instid1(VALU_DEP_1)
	v_fma_f32 v33, -v29, v32, v31
	v_fmac_f32_e32 v32, v33, v30
	s_delay_alu instid0(VALU_DEP_1) | instskip(NEXT) | instid1(VALU_DEP_1)
	v_fma_f32 v29, -v29, v32, v31
	v_div_fmas_f32 v29, v29, v30, v32
	s_delay_alu instid0(VALU_DEP_1)
	v_div_fixup_f32 v27, v29, v25, v27
	s_and_saveexec_b32 s48, s3
	s_cbranch_execz .LBB4_62
; %bb.61:                               ;   in Loop: Header=BB4_60 Depth=2
	v_add_nc_u32_e32 v28, 0x1080, v28
	ds_store_b32 v28, v27
.LBB4_62:                               ;   in Loop: Header=BB4_60 Depth=2
	s_or_b32 exec_lo, exec_lo, s48
	s_and_saveexec_b32 s48, s6
	s_cbranch_execz .LBB4_59
; %bb.63:                               ;   in Loop: Header=BB4_60 Depth=2
	v_dual_mov_b32 v28, v10 :: v_dual_mov_b32 v29, v9
	v_mov_b32_e32 v30, v26
	s_mov_b32 s49, 0
	.p2align	6
.LBB4_64:                               ;   Parent Loop BB4_13 Depth=1
                                        ;     Parent Loop BB4_60 Depth=2
                                        ; =>    This Inner Loop Header: Depth=3
	ds_load_b32 v31, v28
	ds_load_b32 v32, v29
	v_add_nc_u32_e32 v30, 2, v30
	v_add_nc_u32_e32 v28, 0x108, v28
	s_delay_alu instid0(VALU_DEP_2)
	v_cmp_le_i32_e32 vcc_lo, s25, v30
	s_or_b32 s49, vcc_lo, s49
	s_waitcnt lgkmcnt(0)
	v_fma_f32 v31, -v27, v31, v32
	ds_store_b32 v29, v31
	v_add_nc_u32_e32 v29, 0x108, v29
	s_and_not1_b32 exec_lo, exec_lo, s49
	s_cbranch_execnz .LBB4_64
	s_branch .LBB4_59
.LBB4_65:                               ;   in Loop: Header=BB4_13 Depth=1
	s_or_b32 exec_lo, exec_lo, s7
	s_waitcnt lgkmcnt(0)
	buffer_gl0_inv
.LBB4_66:                               ;   in Loop: Header=BB4_13 Depth=1
	s_and_saveexec_b32 s7, s0
	s_cbranch_execz .LBB4_76
; %bb.67:                               ;   in Loop: Header=BB4_13 Depth=1
	v_dual_mov_b32 v25, v19 :: v_dual_mov_b32 v26, v17
	v_mov_b32_e32 v9, v3
	s_mul_i32 s46, s34, s25
	s_mov_b32 s47, 0
	s_set_inst_prefetch_distance 0x1
	s_branch .LBB4_69
	.p2align	6
.LBB4_68:                               ;   in Loop: Header=BB4_69 Depth=2
	s_or_b32 exec_lo, exec_lo, s48
	v_add_nc_u32_e32 v9, 32, v9
	v_add_nc_u32_e32 v26, s44, v26
	;; [unrolled: 1-line block ×3, first 2 shown]
	s_delay_alu instid0(VALU_DEP_3) | instskip(SKIP_1) | instid1(SALU_CYCLE_1)
	v_cmp_le_i32_e32 vcc_lo, s25, v9
	s_or_b32 s47, vcc_lo, s47
	s_and_not1_b32 exec_lo, exec_lo, s47
	s_cbranch_execz .LBB4_76
.LBB4_69:                               ;   Parent Loop BB4_13 Depth=1
                                        ; =>  This Loop Header: Depth=2
                                        ;       Child Loop BB4_72 Depth 3
	s_and_saveexec_b32 s48, s2
	s_cbranch_execz .LBB4_68
; %bb.70:                               ;   in Loop: Header=BB4_69 Depth=2
	v_dual_mov_b32 v27, v25 :: v_dual_mov_b32 v28, v14
	s_mov_b32 s49, 0
	s_branch .LBB4_72
	.p2align	6
.LBB4_71:                               ;   in Loop: Header=BB4_72 Depth=3
	s_delay_alu instid0(VALU_DEP_1) | instskip(SKIP_2) | instid1(VALU_DEP_3)
	v_ashrrev_i32_e32 v11, 31, v10
	v_add_nc_u32_e32 v28, 2, v28
	v_add_nc_u32_e32 v27, 0x108, v27
	v_lshlrev_b64 v[10:11], 2, v[10:11]
	s_delay_alu instid0(VALU_DEP_3) | instskip(SKIP_1) | instid1(VALU_DEP_2)
	v_cmp_le_i32_e32 vcc_lo, s25, v28
	s_or_b32 s49, vcc_lo, s49
	v_add_co_u32 v10, s6, s12, v10
	s_delay_alu instid0(VALU_DEP_1)
	v_add_co_ci_u32_e64 v11, s6, s13, v11, s6
	s_waitcnt lgkmcnt(0)
	global_store_b32 v[10:11], v29, off
	s_and_not1_b32 exec_lo, exec_lo, s49
	s_cbranch_execz .LBB4_68
.LBB4_72:                               ;   Parent Loop BB4_13 Depth=1
                                        ;     Parent Loop BB4_69 Depth=2
                                        ; =>    This Inner Loop Header: Depth=3
	ds_load_b32 v29, v27
	s_and_b32 vcc_lo, exec_lo, s29
	s_cbranch_vccz .LBB4_74
; %bb.73:                               ;   in Loop: Header=BB4_72 Depth=3
	v_add_nc_u32_e32 v30, s46, v28
	s_delay_alu instid0(VALU_DEP_1)
	v_mad_u64_u32 v[10:11], null, v30, s25, v[9:10]
	s_cbranch_execnz .LBB4_71
	s_branch .LBB4_75
	.p2align	6
.LBB4_74:                               ;   in Loop: Header=BB4_72 Depth=3
                                        ; implicit-def: $vgpr10
.LBB4_75:                               ;   in Loop: Header=BB4_72 Depth=3
	v_add_nc_u32_e32 v10, v26, v28
	s_branch .LBB4_71
.LBB4_76:                               ;   in Loop: Header=BB4_13 Depth=1
	s_set_inst_prefetch_distance 0x2
	s_or_b32 exec_lo, exec_lo, s7
	s_sub_i32 s45, s45, s24
	s_add_i32 s6, s35, 1
	s_delay_alu instid0(SALU_CYCLE_1)
	s_cmp_ge_i32 s6, s45
	s_cbranch_scc1 .LBB4_12
; %bb.77:                               ;   in Loop: Header=BB4_13 Depth=1
	v_mad_u64_u32 v[9:10], null, s25, s6, v[3:4]
	s_delay_alu instid0(VALU_DEP_1)
	v_mul_lo_u32 v25, s25, v9
	s_branch .LBB4_81
.LBB4_78:                               ;   in Loop: Header=BB4_81 Depth=2
	s_or_b32 exec_lo, exec_lo, s35
.LBB4_79:                               ;   in Loop: Header=BB4_81 Depth=2
	s_delay_alu instid0(SALU_CYCLE_1)
	s_or_b32 exec_lo, exec_lo, s7
.LBB4_80:                               ;   in Loop: Header=BB4_81 Depth=2
	v_add_nc_u32_e32 v25, s43, v25
	s_add_i32 s6, s6, 1
	s_waitcnt lgkmcnt(0)
	s_waitcnt_vscnt null, 0x0
	buffer_gl0_inv
	s_cmp_lt_i32 s6, s45
	s_cbranch_scc0 .LBB4_12
.LBB4_81:                               ;   Parent Loop BB4_13 Depth=1
                                        ; =>  This Loop Header: Depth=2
                                        ;       Child Loop BB4_86 Depth 3
                                        ;       Child Loop BB4_95 Depth 3
                                        ;         Child Loop BB4_98 Depth 4
                                        ;       Child Loop BB4_104 Depth 3
                                        ;         Child Loop BB4_107 Depth 4
                                        ;           Child Loop BB4_108 Depth 5
	s_ashr_i32 s7, s6, 31
	v_mov_b32_e32 v10, s31
	s_lshl_b64 s[46:47], s[6:7], 2
	s_delay_alu instid0(SALU_CYCLE_1)
	s_add_u32 s46, s10, s46
	s_addc_u32 s47, s11, s47
	global_load_b32 v9, v24, s[46:47]
	s_and_saveexec_b32 s7, s4
	s_cbranch_execz .LBB4_83
; %bb.82:                               ;   in Loop: Header=BB4_81 Depth=2
	global_load_b32 v10, v[5:6], off
	s_waitcnt vmcnt(0)
	v_subrev_nc_u32_e32 v10, s24, v10
.LBB4_83:                               ;   in Loop: Header=BB4_81 Depth=2
	s_or_b32 exec_lo, exec_lo, s7
	s_waitcnt vmcnt(0)
	v_subrev_nc_u32_e32 v11, s24, v9
	v_mov_b32_e32 v26, v4
	s_mov_b32 s7, exec_lo
	s_delay_alu instid0(VALU_DEP_2)
	v_cmpx_lt_i32_e64 v10, v11
	s_cbranch_execz .LBB4_89
; %bb.84:                               ;   in Loop: Header=BB4_81 Depth=2
	v_mov_b32_e32 v9, v4
	s_mov_b32 s35, 0
	s_branch .LBB4_86
	.p2align	6
.LBB4_85:                               ;   in Loop: Header=BB4_86 Depth=3
	s_or_b32 exec_lo, exec_lo, s46
	s_delay_alu instid0(VALU_DEP_1) | instskip(SKIP_2) | instid1(SALU_CYCLE_1)
	v_cmp_ge_i32_e32 vcc_lo, v10, v11
	v_mov_b32_e32 v9, v26
	s_or_b32 s35, vcc_lo, s35
	s_and_not1_b32 exec_lo, exec_lo, s35
	s_cbranch_execz .LBB4_88
.LBB4_86:                               ;   Parent Loop BB4_13 Depth=1
                                        ;     Parent Loop BB4_81 Depth=2
                                        ; =>    This Inner Loop Header: Depth=3
	s_delay_alu instid0(VALU_DEP_1) | instskip(SKIP_2) | instid1(VALU_DEP_2)
	v_add_nc_u32_e32 v26, 64, v9
	v_mov_b32_e32 v10, s31
	s_mov_b32 s46, exec_lo
	v_cmpx_gt_i32_e64 s33, v26
	s_cbranch_execz .LBB4_85
; %bb.87:                               ;   in Loop: Header=BB4_86 Depth=3
	v_ashrrev_i32_e32 v10, 31, v9
	s_delay_alu instid0(VALU_DEP_1) | instskip(NEXT) | instid1(VALU_DEP_1)
	v_lshlrev_b64 v[9:10], 2, v[9:10]
	v_add_co_u32 v9, vcc_lo, s41, v9
	s_delay_alu instid0(VALU_DEP_2)
	v_add_co_ci_u32_e32 v10, vcc_lo, s42, v10, vcc_lo
	global_load_b32 v9, v[9:10], off
	s_waitcnt vmcnt(0)
	v_subrev_nc_u32_e32 v10, s24, v9
	s_branch .LBB4_85
.LBB4_88:                               ;   in Loop: Header=BB4_81 Depth=2
	s_or_b32 exec_lo, exec_lo, s35
.LBB4_89:                               ;   in Loop: Header=BB4_81 Depth=2
	s_delay_alu instid0(SALU_CYCLE_1)
	s_or_b32 exec_lo, exec_lo, s7
	v_cmp_eq_u32_e32 vcc_lo, v10, v11
	s_cbranch_vccz .LBB4_80
; %bb.90:                               ;   in Loop: Header=BB4_81 Depth=2
	s_ctz_i32_b32 s7, vcc_lo
	s_delay_alu instid0(SALU_CYCLE_1) | instskip(NEXT) | instid1(SALU_CYCLE_1)
	s_lshl_b32 s7, s7, 2
	v_mov_b32_e32 v9, s7
	ds_bpermute_b32 v26, v9, v26
	s_and_saveexec_b32 s7, s1
	s_delay_alu instid0(SALU_CYCLE_1)
	s_xor_b32 s7, exec_lo, s7
	s_cbranch_execz .LBB4_92
; %bb.91:                               ;   in Loop: Header=BB4_81 Depth=2
	s_waitcnt lgkmcnt(0)
	s_waitcnt_vscnt null, 0x0
	buffer_gl0_inv
                                        ; implicit-def: $vgpr26
.LBB4_92:                               ;   in Loop: Header=BB4_81 Depth=2
	s_and_not1_saveexec_b32 s7, s7
	s_cbranch_execz .LBB4_79
; %bb.93:                               ;   in Loop: Header=BB4_81 Depth=2
	v_dual_mov_b32 v27, v16 :: v_dual_mov_b32 v28, v25
	v_mov_b32_e32 v9, v3
	s_mul_i32 s46, s6, s25
	s_mov_b32 s35, 0
	s_set_inst_prefetch_distance 0x1
	s_branch .LBB4_95
	.p2align	6
.LBB4_94:                               ;   in Loop: Header=BB4_95 Depth=3
	s_or_b32 exec_lo, exec_lo, s47
	v_add_nc_u32_e32 v9, 32, v9
	v_add_nc_u32_e32 v28, s44, v28
	;; [unrolled: 1-line block ×3, first 2 shown]
	s_delay_alu instid0(VALU_DEP_3) | instskip(SKIP_1) | instid1(SALU_CYCLE_1)
	v_cmp_le_i32_e32 vcc_lo, s25, v9
	s_or_b32 s35, vcc_lo, s35
	s_and_not1_b32 exec_lo, exec_lo, s35
	s_cbranch_execz .LBB4_102
.LBB4_95:                               ;   Parent Loop BB4_13 Depth=1
                                        ;     Parent Loop BB4_81 Depth=2
                                        ; =>    This Loop Header: Depth=3
                                        ;         Child Loop BB4_98 Depth 4
	s_and_saveexec_b32 s47, s2
	s_cbranch_execz .LBB4_94
; %bb.96:                               ;   in Loop: Header=BB4_95 Depth=3
	v_dual_mov_b32 v29, v27 :: v_dual_mov_b32 v30, v14
	s_mov_b32 s48, 0
	s_branch .LBB4_98
	.p2align	6
.LBB4_97:                               ;   in Loop: Header=BB4_98 Depth=4
	s_delay_alu instid0(VALU_DEP_1) | instskip(SKIP_1) | instid1(VALU_DEP_2)
	v_ashrrev_i32_e32 v11, 31, v10
	v_add_nc_u32_e32 v30, 2, v30
	v_lshlrev_b64 v[10:11], 2, v[10:11]
	s_delay_alu instid0(VALU_DEP_1) | instskip(NEXT) | instid1(VALU_DEP_2)
	v_add_co_u32 v10, vcc_lo, s12, v10
	v_add_co_ci_u32_e32 v11, vcc_lo, s13, v11, vcc_lo
	s_delay_alu instid0(VALU_DEP_4)
	v_cmp_le_i32_e32 vcc_lo, s25, v30
	global_load_b32 v10, v[10:11], off
	s_or_b32 s48, vcc_lo, s48
	s_waitcnt vmcnt(0)
	ds_store_b32 v29, v10
	v_add_nc_u32_e32 v29, 0x108, v29
	s_and_not1_b32 exec_lo, exec_lo, s48
	s_cbranch_execz .LBB4_94
.LBB4_98:                               ;   Parent Loop BB4_13 Depth=1
                                        ;     Parent Loop BB4_81 Depth=2
                                        ;       Parent Loop BB4_95 Depth=3
                                        ; =>      This Inner Loop Header: Depth=4
	s_and_b32 vcc_lo, exec_lo, s29
	s_cbranch_vccz .LBB4_100
; %bb.99:                               ;   in Loop: Header=BB4_98 Depth=4
	v_add_nc_u32_e32 v31, s46, v30
	s_delay_alu instid0(VALU_DEP_1)
	v_mad_u64_u32 v[10:11], null, v31, s25, v[9:10]
	s_cbranch_execnz .LBB4_97
	s_branch .LBB4_101
	.p2align	6
.LBB4_100:                              ;   in Loop: Header=BB4_98 Depth=4
                                        ; implicit-def: $vgpr10
.LBB4_101:                              ;   in Loop: Header=BB4_98 Depth=4
	v_add_nc_u32_e32 v10, v28, v30
	s_branch .LBB4_97
.LBB4_102:                              ;   in Loop: Header=BB4_81 Depth=2
	s_set_inst_prefetch_distance 0x2
	s_or_b32 exec_lo, exec_lo, s35
	s_waitcnt lgkmcnt(0)
	v_mul_lo_u32 v26, v26, s25
	v_mov_b32_e32 v27, v23
	v_mov_b32_e32 v9, v3
	s_mov_b32 s35, 0
	s_waitcnt_vscnt null, 0x0
	buffer_gl0_inv
	s_branch .LBB4_104
.LBB4_103:                              ;   in Loop: Header=BB4_104 Depth=3
	s_set_inst_prefetch_distance 0x2
	s_or_b32 exec_lo, exec_lo, s46
	v_add_nc_u32_e32 v9, 32, v9
	v_add_nc_u32_e32 v27, 0x80, v27
	s_delay_alu instid0(VALU_DEP_2) | instskip(SKIP_1) | instid1(SALU_CYCLE_1)
	v_cmp_le_i32_e32 vcc_lo, s25, v9
	s_or_b32 s35, vcc_lo, s35
	s_and_not1_b32 exec_lo, exec_lo, s35
	s_cbranch_execz .LBB4_78
.LBB4_104:                              ;   Parent Loop BB4_13 Depth=1
                                        ;     Parent Loop BB4_81 Depth=2
                                        ; =>    This Loop Header: Depth=3
                                        ;         Child Loop BB4_107 Depth 4
                                        ;           Child Loop BB4_108 Depth 5
	s_and_saveexec_b32 s46, s2
	s_cbranch_execz .LBB4_103
; %bb.105:                              ;   in Loop: Header=BB4_104 Depth=3
	v_dual_mov_b32 v29, v18 :: v_dual_add_nc_u32 v10, v9, v26
	v_mov_b32_e32 v30, v14
	s_mov_b32 s47, 0
	s_delay_alu instid0(VALU_DEP_2)
	v_mul_lo_u32 v28, v10, s25
	s_set_inst_prefetch_distance 0x1
	s_branch .LBB4_107
	.p2align	6
.LBB4_106:                              ;   in Loop: Header=BB4_107 Depth=4
	s_delay_alu instid0(VALU_DEP_1) | instskip(SKIP_1) | instid1(VALU_DEP_2)
	v_ashrrev_i32_e32 v11, 31, v10
	v_add_nc_u32_e32 v29, 0x108, v29
	v_lshlrev_b64 v[10:11], 2, v[10:11]
	s_delay_alu instid0(VALU_DEP_1) | instskip(NEXT) | instid1(VALU_DEP_2)
	v_add_co_u32 v10, vcc_lo, s12, v10
	v_add_co_ci_u32_e32 v11, vcc_lo, s13, v11, vcc_lo
	global_load_b32 v32, v[10:11], off
	s_waitcnt vmcnt(0)
	v_dual_sub_f32 v31, v32, v31 :: v_dual_add_nc_u32 v30, 2, v30
	s_delay_alu instid0(VALU_DEP_1) | instskip(SKIP_2) | instid1(SALU_CYCLE_1)
	v_cmp_le_i32_e32 vcc_lo, s25, v30
	global_store_b32 v[10:11], v31, off
	s_or_b32 s47, vcc_lo, s47
	s_and_not1_b32 exec_lo, exec_lo, s47
	s_cbranch_execz .LBB4_103
.LBB4_107:                              ;   Parent Loop BB4_13 Depth=1
                                        ;     Parent Loop BB4_81 Depth=2
                                        ;       Parent Loop BB4_104 Depth=3
                                        ; =>      This Loop Header: Depth=4
                                        ;           Child Loop BB4_108 Depth 5
	v_dual_mov_b32 v31, 0 :: v_dual_mov_b32 v10, v27
	v_mov_b32_e32 v11, v29
	s_mov_b32 s48, s25
.LBB4_108:                              ;   Parent Loop BB4_13 Depth=1
                                        ;     Parent Loop BB4_81 Depth=2
                                        ;       Parent Loop BB4_104 Depth=3
                                        ;         Parent Loop BB4_107 Depth=4
                                        ; =>        This Inner Loop Header: Depth=5
	ds_load_b32 v32, v10
	ds_load_b32 v33, v11
	v_add_nc_u32_e32 v11, 4, v11
	v_add_nc_u32_e32 v10, 0x84, v10
	s_add_i32 s48, s48, -1
	s_delay_alu instid0(SALU_CYCLE_1)
	s_cmp_eq_u32 s48, 0
	s_waitcnt lgkmcnt(0)
	v_fmac_f32_e32 v31, v32, v33
	s_cbranch_scc0 .LBB4_108
; %bb.109:                              ;   in Loop: Header=BB4_107 Depth=4
	s_and_b32 vcc_lo, exec_lo, s29
	s_cbranch_vccz .LBB4_111
; %bb.110:                              ;   in Loop: Header=BB4_107 Depth=4
	v_add_nc_u32_e32 v32, v30, v26
	s_delay_alu instid0(VALU_DEP_1)
	v_mad_u64_u32 v[10:11], null, v32, s25, v[9:10]
	s_cbranch_execnz .LBB4_106
	s_branch .LBB4_112
.LBB4_111:                              ;   in Loop: Header=BB4_107 Depth=4
                                        ; implicit-def: $vgpr10
.LBB4_112:                              ;   in Loop: Header=BB4_107 Depth=4
	v_add_nc_u32_e32 v10, v30, v28
	s_branch .LBB4_106
.LBB4_113:
	s_ashr_i32 s29, s28, 31
	v_mov_b32_e32 v3, 0
	s_lshl_b64 s[0:1], s[28:29], 2
	s_delay_alu instid0(SALU_CYCLE_1) | instskip(SKIP_4) | instid1(VALU_DEP_1)
	s_add_u32 s0, s10, s0
	s_addc_u32 s1, s11, s1
	global_load_b32 v3, v3, s[0:1]
	s_waitcnt vmcnt(0)
	v_subrev_nc_u32_e32 v3, s24, v3
	v_cmp_ne_u32_e32 vcc_lo, s22, v3
	s_cbranch_vccnz .LBB4_158
; %bb.114:
	v_and_b32_e32 v3, 0x3ff, v0
	s_delay_alu instid0(VALU_DEP_1) | instskip(SKIP_1) | instid1(VALU_DEP_2)
	v_cmp_gt_i32_e64 s0, s25, v3
	v_lshlrev_b32_e32 v7, 2, v3
	s_and_saveexec_b32 s2, s0
	s_cbranch_execz .LBB4_125
; %bb.115:
	s_mul_i32 s3, s28, s25
	v_bfe_u32 v8, v0, 10, 10
	v_add_nc_u32_e32 v4, s3, v3
	v_lshlrev_b32_e32 v5, 2, v3
	s_cmp_lg_u32 s30, 0
	s_mov_b32 s4, 0
	v_cmp_gt_u32_e64 s1, s25, v8
	v_mul_lo_u32 v9, s25, v4
	v_mov_b32_e32 v4, v3
	v_mad_u32_u24 v10, 0x84, v8, v5
	s_cselect_b32 s5, -1, 0
	s_lshl_b32 s6, s25, 5
	s_set_inst_prefetch_distance 0x1
	s_branch .LBB4_117
	.p2align	6
.LBB4_116:                              ;   in Loop: Header=BB4_117 Depth=1
	s_or_b32 exec_lo, exec_lo, s7
	v_add_nc_u32_e32 v4, 32, v4
	v_add_nc_u32_e32 v9, s6, v9
	;; [unrolled: 1-line block ×3, first 2 shown]
	s_delay_alu instid0(VALU_DEP_3) | instskip(SKIP_1) | instid1(SALU_CYCLE_1)
	v_cmp_le_i32_e32 vcc_lo, s25, v4
	s_or_b32 s4, vcc_lo, s4
	s_and_not1_b32 exec_lo, exec_lo, s4
	s_cbranch_execz .LBB4_125
.LBB4_117:                              ; =>This Loop Header: Depth=1
                                        ;     Child Loop BB4_120 Depth 2
	s_and_saveexec_b32 s7, s1
	s_cbranch_execz .LBB4_116
; %bb.118:                              ;   in Loop: Header=BB4_117 Depth=1
	v_dual_mov_b32 v11, v10 :: v_dual_mov_b32 v14, v8
	s_mov_b32 s8, 0
	s_branch .LBB4_120
	.p2align	6
.LBB4_119:                              ;   in Loop: Header=BB4_120 Depth=2
	s_delay_alu instid0(VALU_DEP_1) | instskip(SKIP_1) | instid1(VALU_DEP_2)
	v_ashrrev_i32_e32 v6, 31, v5
	v_add_nc_u32_e32 v14, 2, v14
	v_lshlrev_b64 v[5:6], 2, v[5:6]
	s_delay_alu instid0(VALU_DEP_1) | instskip(NEXT) | instid1(VALU_DEP_2)
	v_add_co_u32 v5, vcc_lo, s12, v5
	v_add_co_ci_u32_e32 v6, vcc_lo, s13, v6, vcc_lo
	s_delay_alu instid0(VALU_DEP_4)
	v_cmp_le_i32_e32 vcc_lo, s25, v14
	global_load_b32 v5, v[5:6], off
	s_or_b32 s8, vcc_lo, s8
	s_waitcnt vmcnt(0)
	ds_store_b32 v11, v5
	v_add_nc_u32_e32 v11, 0x108, v11
	s_and_not1_b32 exec_lo, exec_lo, s8
	s_cbranch_execz .LBB4_116
.LBB4_120:                              ;   Parent Loop BB4_117 Depth=1
                                        ; =>  This Inner Loop Header: Depth=2
	s_and_b32 vcc_lo, exec_lo, s5
	s_cbranch_vccz .LBB4_122
; %bb.121:                              ;   in Loop: Header=BB4_120 Depth=2
	v_add_nc_u32_e32 v15, s3, v14
	s_delay_alu instid0(VALU_DEP_1)
	v_mad_u64_u32 v[5:6], null, v15, s25, v[4:5]
	s_cbranch_execnz .LBB4_119
	s_branch .LBB4_123
	.p2align	6
.LBB4_122:                              ;   in Loop: Header=BB4_120 Depth=2
                                        ; implicit-def: $vgpr5
.LBB4_123:                              ;   in Loop: Header=BB4_120 Depth=2
	v_add_nc_u32_e32 v5, v9, v14
	s_branch .LBB4_119
.LBB4_124:
	s_mov_b32 s23, -1
	s_branch .LBB4_191
.LBB4_125:
	s_set_inst_prefetch_distance 0x2
	s_or_b32 exec_lo, exec_lo, s2
	s_cmp_lt_i32 s25, 1
	s_waitcnt lgkmcnt(0)
	s_waitcnt_vscnt null, 0x0
	buffer_gl0_inv
	s_cbranch_scc1 .LBB4_147
; %bb.126:
	v_cvt_f64_f32_e32 v[5:6], v13
	v_bfe_u32 v8, v0, 10, 10
	s_cmp_eq_u64 s[16:17], 8
	s_mov_b32 s4, 0
	s_cselect_b32 vcc_lo, -1, 0
	s_delay_alu instid0(VALU_DEP_1) | instskip(SKIP_2) | instid1(VALU_DEP_3)
	v_or_b32_e32 v9, v3, v8
	v_cmp_eq_u32_e64 s1, 0, v8
	v_mad_u32_u24 v4, 0x84, v8, 0x84
	v_cmp_eq_u32_e64 s2, 0, v9
	v_dual_cndmask_b32 v2, v6, v2 :: v_dual_cndmask_b32 v1, v5, v1
.LBB4_127:                              ; =>This Loop Header: Depth=1
                                        ;     Child Loop BB4_139 Depth 2
                                        ;       Child Loop BB4_143 Depth 3
	s_lshl_b32 s3, s4, 2
	s_mul_i32 s5, s4, 0x84
	s_and_not1_b32 vcc_lo, exec_lo, s36
	s_add_i32 s3, s5, s3
	s_waitcnt lgkmcnt(0)
	v_mov_b32_e32 v5, s3
	ds_load_b32 v5, v5
	s_cbranch_vccnz .LBB4_131
; %bb.128:                              ;   in Loop: Header=BB4_127 Depth=1
	s_waitcnt lgkmcnt(0)
	v_cmp_gt_f32_e32 vcc_lo, 0, v5
	buffer_gl0_inv
	v_cndmask_b32_e64 v6, v5, -v5, vcc_lo
	s_delay_alu instid0(VALU_DEP_1) | instskip(NEXT) | instid1(VALU_DEP_1)
	v_cvt_f64_f32_e32 v[9:10], v6
	v_cmp_ge_f64_e32 vcc_lo, v[1:2], v[9:10]
	v_cndmask_b32_e32 v9, v5, v12, vcc_lo
	s_and_saveexec_b32 s6, s2
	s_cbranch_execz .LBB4_130
; %bb.129:                              ;   in Loop: Header=BB4_127 Depth=1
	v_mov_b32_e32 v6, s3
	ds_store_b32 v6, v9
.LBB4_130:                              ;   in Loop: Header=BB4_127 Depth=1
	s_or_b32 exec_lo, exec_lo, s6
	s_mov_b32 s3, -1
	s_mov_b32 s7, 0
	s_cbranch_execz .LBB4_132
	s_branch .LBB4_133
.LBB4_131:                              ;   in Loop: Header=BB4_127 Depth=1
	s_mov_b32 s3, 0
                                        ; implicit-def: $vgpr9
	s_mov_b32 s7, 0
.LBB4_132:                              ;   in Loop: Header=BB4_127 Depth=1
	s_waitcnt lgkmcnt(0)
	v_cmp_neq_f32_e64 s3, 0, v5
	v_mov_b32_e32 v9, v5
	s_mov_b32 s7, -1
.LBB4_133:                              ;   in Loop: Header=BB4_127 Depth=1
	s_delay_alu instid0(VALU_DEP_2)
	s_and_not1_b32 vcc_lo, exec_lo, s3
                                        ; implicit-def: $sgpr6
	s_cbranch_vccz .LBB4_136
; %bb.134:                              ;   in Loop: Header=BB4_127 Depth=1
	s_and_not1_b32 vcc_lo, exec_lo, s7
	s_cbranch_vccz .LBB4_145
.LBB4_135:                              ;   in Loop: Header=BB4_127 Depth=1
	s_cmp_eq_u32 s6, s25
	s_cbranch_scc0 .LBB4_146
	s_branch .LBB4_147
.LBB4_136:                              ;   in Loop: Header=BB4_127 Depth=1
	s_add_i32 s6, s4, 1
	s_mov_b32 s7, exec_lo
	v_add_nc_u32_e32 v10, s6, v3
	s_delay_alu instid0(VALU_DEP_1)
	v_cmpx_gt_i32_e64 s25, v10
	s_cbranch_execz .LBB4_144
; %bb.137:                              ;   in Loop: Header=BB4_127 Depth=1
	v_add_nc_u32_e32 v11, s6, v8
	s_waitcnt lgkmcnt(0)
	v_mad_u64_u32 v[5:6], null, 0x88, s4, v[4:5]
	v_mov_b32_e32 v6, v7
	s_mov_b32 s8, 0
	v_cmp_gt_i32_e64 s3, s25, v11
	s_branch .LBB4_139
.LBB4_138:                              ;   in Loop: Header=BB4_139 Depth=2
	s_or_b32 exec_lo, exec_lo, s9
	v_add_nc_u32_e32 v10, 32, v10
	v_add_nc_u32_e32 v6, 0x80, v6
	s_delay_alu instid0(VALU_DEP_2) | instskip(SKIP_1) | instid1(SALU_CYCLE_1)
	v_cmp_le_i32_e32 vcc_lo, s25, v10
	s_or_b32 s8, vcc_lo, s8
	s_and_not1_b32 exec_lo, exec_lo, s8
	s_cbranch_execz .LBB4_144
.LBB4_139:                              ;   Parent Loop BB4_127 Depth=1
                                        ; =>  This Loop Header: Depth=2
                                        ;       Child Loop BB4_143 Depth 3
	v_lshl_add_u32 v14, v10, 2, s5
	ds_load_b32 v13, v14
	s_waitcnt lgkmcnt(0)
	buffer_gl0_inv
	v_div_scale_f32 v15, null, v9, v9, v13
	s_delay_alu instid0(VALU_DEP_1) | instskip(SKIP_2) | instid1(VALU_DEP_1)
	v_rcp_f32_e32 v16, v15
	s_waitcnt_depctr 0xfff
	v_fma_f32 v17, -v15, v16, 1.0
	v_fmac_f32_e32 v16, v17, v16
	v_div_scale_f32 v17, vcc_lo, v13, v9, v13
	s_delay_alu instid0(VALU_DEP_1) | instskip(NEXT) | instid1(VALU_DEP_1)
	v_mul_f32_e32 v18, v17, v16
	v_fma_f32 v19, -v15, v18, v17
	s_delay_alu instid0(VALU_DEP_1) | instskip(NEXT) | instid1(VALU_DEP_1)
	v_fmac_f32_e32 v18, v19, v16
	v_fma_f32 v15, -v15, v18, v17
	s_delay_alu instid0(VALU_DEP_1) | instskip(NEXT) | instid1(VALU_DEP_1)
	v_div_fmas_f32 v15, v15, v16, v18
	v_div_fixup_f32 v13, v15, v9, v13
	s_and_saveexec_b32 s9, s1
	s_cbranch_execz .LBB4_141
; %bb.140:                              ;   in Loop: Header=BB4_139 Depth=2
	ds_store_b32 v14, v13
.LBB4_141:                              ;   in Loop: Header=BB4_139 Depth=2
	s_or_b32 exec_lo, exec_lo, s9
	s_and_saveexec_b32 s9, s3
	s_cbranch_execz .LBB4_138
; %bb.142:                              ;   in Loop: Header=BB4_139 Depth=2
	v_dual_mov_b32 v14, v5 :: v_dual_mov_b32 v15, v11
	s_mov_b32 s10, 0
	.p2align	6
.LBB4_143:                              ;   Parent Loop BB4_127 Depth=1
                                        ;     Parent Loop BB4_139 Depth=2
                                        ; =>    This Inner Loop Header: Depth=3
	s_delay_alu instid0(VALU_DEP_1) | instskip(NEXT) | instid1(VALU_DEP_2)
	v_add_nc_u32_e32 v16, v14, v6
	v_add_nc_u32_e32 v15, 2, v15
	ds_load_b32 v17, v14
	ds_load_b32 v18, v16 offset:4
	v_add_nc_u32_e32 v14, 0x108, v14
	v_cmp_le_i32_e32 vcc_lo, s25, v15
	s_or_b32 s10, vcc_lo, s10
	s_waitcnt lgkmcnt(0)
	v_fma_f32 v17, -v13, v17, v18
	ds_store_b32 v16, v17 offset:4
	s_and_not1_b32 exec_lo, exec_lo, s10
	s_cbranch_execnz .LBB4_143
	s_branch .LBB4_138
.LBB4_144:                              ;   in Loop: Header=BB4_127 Depth=1
	s_or_b32 exec_lo, exec_lo, s7
	s_cbranch_execnz .LBB4_135
.LBB4_145:                              ;   in Loop: Header=BB4_127 Depth=1
	s_add_i32 s6, s4, 1
	s_mov_b32 s23, -1
	s_cmp_eq_u32 s6, s25
	s_cbranch_scc1 .LBB4_147
.LBB4_146:                              ;   in Loop: Header=BB4_127 Depth=1
	s_mov_b32 s4, s6
	s_branch .LBB4_127
.LBB4_147:
	s_waitcnt lgkmcnt(0)
	buffer_gl0_inv
	s_and_saveexec_b32 s2, s0
	s_cbranch_execz .LBB4_157
; %bb.148:
	s_mul_i32 s3, s28, s25
	v_bfe_u32 v4, v0, 10, 10
	v_add_nc_u32_e32 v1, s3, v3
	s_cmp_lg_u32 s30, 0
	s_mov_b32 s4, 0
	s_cselect_b32 s5, -1, 0
	v_cmp_gt_u32_e64 s0, s25, v4
	v_mul_lo_u32 v5, s25, v1
	v_mad_u32_u24 v6, 0x84, v4, v7
	s_lshl_b32 s6, s25, 5
	s_set_inst_prefetch_distance 0x1
	s_branch .LBB4_150
	.p2align	6
.LBB4_149:                              ;   in Loop: Header=BB4_150 Depth=1
	s_or_b32 exec_lo, exec_lo, s7
	v_add_nc_u32_e32 v3, 32, v3
	v_add_nc_u32_e32 v5, s6, v5
	;; [unrolled: 1-line block ×3, first 2 shown]
	s_delay_alu instid0(VALU_DEP_3) | instskip(SKIP_1) | instid1(SALU_CYCLE_1)
	v_cmp_le_i32_e32 vcc_lo, s25, v3
	s_or_b32 s4, vcc_lo, s4
	s_and_not1_b32 exec_lo, exec_lo, s4
	s_cbranch_execz .LBB4_157
.LBB4_150:                              ; =>This Loop Header: Depth=1
                                        ;     Child Loop BB4_153 Depth 2
	s_and_saveexec_b32 s7, s0
	s_cbranch_execz .LBB4_149
; %bb.151:                              ;   in Loop: Header=BB4_150 Depth=1
	v_dual_mov_b32 v7, v6 :: v_dual_mov_b32 v8, v4
	s_mov_b32 s8, 0
	s_branch .LBB4_153
	.p2align	6
.LBB4_152:                              ;   in Loop: Header=BB4_153 Depth=2
	s_delay_alu instid0(VALU_DEP_1) | instskip(SKIP_2) | instid1(VALU_DEP_3)
	v_ashrrev_i32_e32 v2, 31, v1
	v_add_nc_u32_e32 v8, 2, v8
	v_add_nc_u32_e32 v7, 0x108, v7
	v_lshlrev_b64 v[1:2], 2, v[1:2]
	s_delay_alu instid0(VALU_DEP_3) | instskip(SKIP_1) | instid1(VALU_DEP_2)
	v_cmp_le_i32_e32 vcc_lo, s25, v8
	s_or_b32 s8, vcc_lo, s8
	v_add_co_u32 v1, s1, s12, v1
	s_delay_alu instid0(VALU_DEP_1)
	v_add_co_ci_u32_e64 v2, s1, s13, v2, s1
	s_waitcnt lgkmcnt(0)
	global_store_b32 v[1:2], v9, off
	s_and_not1_b32 exec_lo, exec_lo, s8
	s_cbranch_execz .LBB4_149
.LBB4_153:                              ;   Parent Loop BB4_150 Depth=1
                                        ; =>  This Inner Loop Header: Depth=2
	ds_load_b32 v9, v7
	s_and_b32 vcc_lo, exec_lo, s5
	s_cbranch_vccz .LBB4_155
; %bb.154:                              ;   in Loop: Header=BB4_153 Depth=2
	v_add_nc_u32_e32 v10, s3, v8
	s_delay_alu instid0(VALU_DEP_1)
	v_mad_u64_u32 v[1:2], null, v10, s25, v[3:4]
	s_cbranch_execnz .LBB4_152
	s_branch .LBB4_156
	.p2align	6
.LBB4_155:                              ;   in Loop: Header=BB4_153 Depth=2
                                        ; implicit-def: $vgpr1
.LBB4_156:                              ;   in Loop: Header=BB4_153 Depth=2
	v_add_nc_u32_e32 v1, v5, v8
	s_branch .LBB4_152
.LBB4_157:
	s_set_inst_prefetch_distance 0x2
	s_or_b32 exec_lo, exec_lo, s2
.LBB4_158:
	s_add_i32 s3, s28, 1
	s_delay_alu instid0(SALU_CYCLE_1)
	s_cmp_ge_i32 s3, s33
	s_cbranch_scc1 .LBB4_191
; %bb.159:
	v_and_b32_e32 v1, 0x3ff, v0
	v_bfe_u32 v5, v0, 10, 10
	s_cmp_lg_u32 s30, 0
	s_mul_i32 s6, s25, s25
	s_cselect_b32 s4, -1, 0
	v_mad_u64_u32 v[2:3], null, s25, s3, v[1:2]
	v_mul_u32_u24_e32 v3, 0x84, v5
	v_lshlrev_b32_e32 v4, 2, v1
	v_mul_u32_u24_e32 v9, 0x84, v1
	v_lshlrev_b32_e32 v10, 2, v5
	s_cmp_gt_i32 s25, 0
	v_cmp_gt_i32_e64 s0, s25, v1
	v_cmp_gt_i32_e64 s1, s25, v5
	v_add_nc_u32_e32 v6, 1, v5
	v_mul_lo_u32 v7, s25, v2
	v_add3_u32 v8, v3, v4, 0x1080
	v_add3_u32 v9, v10, v9, 0x1084
	v_add_nc_u32_e32 v10, 4, v10
	s_cselect_b32 s5, -1, 0
	s_lshl_b32 s7, s25, 5
.LBB4_160:                              ; =>This Loop Header: Depth=1
                                        ;     Child Loop BB4_163 Depth 2
                                        ;       Child Loop BB4_166 Depth 3
                                        ;     Child Loop BB4_173 Depth 2
                                        ;       Child Loop BB4_176 Depth 3
                                        ;         Child Loop BB4_178 Depth 4
                                        ;     Child Loop BB4_182 Depth 2
                                        ;       Child Loop BB4_185 Depth 3
	s_mul_i32 s8, s3, s25
	s_waitcnt lgkmcnt(0)
	s_waitcnt_vscnt null, 0x0
	buffer_gl0_inv
	s_and_saveexec_b32 s2, s0
	s_cbranch_execz .LBB4_170
; %bb.161:                              ;   in Loop: Header=BB4_160 Depth=1
	v_dual_mov_b32 v11, v8 :: v_dual_mov_b32 v12, v7
	v_mov_b32_e32 v2, v1
	s_mov_b32 s9, 0
	s_set_inst_prefetch_distance 0x1
	s_branch .LBB4_163
	.p2align	6
.LBB4_162:                              ;   in Loop: Header=BB4_163 Depth=2
	s_or_b32 exec_lo, exec_lo, s10
	v_add_nc_u32_e32 v2, 32, v2
	v_add_nc_u32_e32 v12, s7, v12
	;; [unrolled: 1-line block ×3, first 2 shown]
	s_delay_alu instid0(VALU_DEP_3) | instskip(SKIP_1) | instid1(SALU_CYCLE_1)
	v_cmp_le_i32_e32 vcc_lo, s25, v2
	s_or_b32 s9, vcc_lo, s9
	s_and_not1_b32 exec_lo, exec_lo, s9
	s_cbranch_execz .LBB4_170
.LBB4_163:                              ;   Parent Loop BB4_160 Depth=1
                                        ; =>  This Loop Header: Depth=2
                                        ;       Child Loop BB4_166 Depth 3
	s_and_saveexec_b32 s10, s1
	s_cbranch_execz .LBB4_162
; %bb.164:                              ;   in Loop: Header=BB4_163 Depth=2
	v_dual_mov_b32 v13, v11 :: v_dual_mov_b32 v14, v5
	s_mov_b32 s11, 0
	s_branch .LBB4_166
	.p2align	6
.LBB4_165:                              ;   in Loop: Header=BB4_166 Depth=3
	s_delay_alu instid0(VALU_DEP_1) | instskip(SKIP_1) | instid1(VALU_DEP_2)
	v_ashrrev_i32_e32 v4, 31, v3
	v_add_nc_u32_e32 v14, 2, v14
	v_lshlrev_b64 v[3:4], 2, v[3:4]
	s_delay_alu instid0(VALU_DEP_1) | instskip(NEXT) | instid1(VALU_DEP_2)
	v_add_co_u32 v3, vcc_lo, s12, v3
	v_add_co_ci_u32_e32 v4, vcc_lo, s13, v4, vcc_lo
	s_delay_alu instid0(VALU_DEP_4)
	v_cmp_le_i32_e32 vcc_lo, s25, v14
	global_load_b32 v3, v[3:4], off
	s_or_b32 s11, vcc_lo, s11
	s_waitcnt vmcnt(0)
	ds_store_b32 v13, v3
	v_add_nc_u32_e32 v13, 0x108, v13
	s_and_not1_b32 exec_lo, exec_lo, s11
	s_cbranch_execz .LBB4_162
.LBB4_166:                              ;   Parent Loop BB4_160 Depth=1
                                        ;     Parent Loop BB4_163 Depth=2
                                        ; =>    This Inner Loop Header: Depth=3
	s_and_b32 vcc_lo, exec_lo, s4
	s_cbranch_vccz .LBB4_168
; %bb.167:                              ;   in Loop: Header=BB4_166 Depth=3
	v_add_nc_u32_e32 v15, s8, v14
	s_delay_alu instid0(VALU_DEP_1)
	v_mad_u64_u32 v[3:4], null, v15, s25, v[2:3]
	s_cbranch_execnz .LBB4_165
	s_branch .LBB4_169
	.p2align	6
.LBB4_168:                              ;   in Loop: Header=BB4_166 Depth=3
                                        ; implicit-def: $vgpr3
.LBB4_169:                              ;   in Loop: Header=BB4_166 Depth=3
	v_add_nc_u32_e32 v3, v12, v14
	s_branch .LBB4_165
.LBB4_170:                              ;   in Loop: Header=BB4_160 Depth=1
	s_set_inst_prefetch_distance 0x2
	s_or_b32 exec_lo, exec_lo, s2
	s_delay_alu instid0(SALU_CYCLE_1)
	s_and_not1_b32 vcc_lo, exec_lo, s5
	s_waitcnt lgkmcnt(0)
	buffer_gl0_inv
	s_cbranch_vccnz .LBB4_179
; %bb.171:                              ;   in Loop: Header=BB4_160 Depth=1
	v_dual_mov_b32 v2, v10 :: v_dual_mov_b32 v3, v9
	s_mov_b32 s9, 0
	s_branch .LBB4_173
.LBB4_172:                              ;   in Loop: Header=BB4_173 Depth=2
	s_set_inst_prefetch_distance 0x2
	s_or_b32 exec_lo, exec_lo, s10
	v_add_nc_u32_e32 v3, 4, v3
	v_add_nc_u32_e32 v2, 0x88, v2
	s_add_i32 s9, s9, 1
	s_delay_alu instid0(SALU_CYCLE_1)
	s_cmp_eq_u32 s9, s25
	s_cbranch_scc1 .LBB4_179
.LBB4_173:                              ;   Parent Loop BB4_160 Depth=1
                                        ; =>  This Loop Header: Depth=2
                                        ;       Child Loop BB4_176 Depth 3
                                        ;         Child Loop BB4_178 Depth 4
	s_and_saveexec_b32 s10, s0
	s_cbranch_execz .LBB4_172
; %bb.174:                              ;   in Loop: Header=BB4_173 Depth=2
	v_dual_mov_b32 v11, v3 :: v_dual_add_nc_u32 v4, s9, v6
	v_mov_b32_e32 v12, v1
	s_mov_b32 s11, 0
	s_lshl_b32 s14, s9, 2
	s_delay_alu instid0(VALU_DEP_2)
	v_cmp_gt_i32_e32 vcc_lo, s25, v4
	s_set_inst_prefetch_distance 0x1
	s_branch .LBB4_176
	.p2align	6
.LBB4_175:                              ;   in Loop: Header=BB4_176 Depth=3
	s_or_b32 exec_lo, exec_lo, s15
	v_add_nc_u32_e32 v12, 32, v12
	v_add_nc_u32_e32 v11, 0x1080, v11
	s_delay_alu instid0(VALU_DEP_2) | instskip(NEXT) | instid1(VALU_DEP_1)
	v_cmp_le_i32_e64 s2, s25, v12
	s_or_b32 s11, s2, s11
	s_delay_alu instid0(SALU_CYCLE_1)
	s_and_not1_b32 exec_lo, exec_lo, s11
	s_cbranch_execz .LBB4_172
.LBB4_176:                              ;   Parent Loop BB4_160 Depth=1
                                        ;     Parent Loop BB4_173 Depth=2
                                        ; =>    This Loop Header: Depth=3
                                        ;         Child Loop BB4_178 Depth 4
	s_and_saveexec_b32 s15, vcc_lo
	s_cbranch_execz .LBB4_175
; %bb.177:                              ;   in Loop: Header=BB4_176 Depth=3
	v_mul_lo_u32 v15, 0x84, v12
	v_dual_mov_b32 v13, v2 :: v_dual_mov_b32 v14, v11
	v_mov_b32_e32 v16, v4
	s_mov_b32 s16, 0
	s_delay_alu instid0(VALU_DEP_3)
	v_add3_u32 v15, 0x1080, s14, v15
	.p2align	6
.LBB4_178:                              ;   Parent Loop BB4_160 Depth=1
                                        ;     Parent Loop BB4_173 Depth=2
                                        ;       Parent Loop BB4_176 Depth=3
                                        ; =>      This Inner Loop Header: Depth=4
	ds_load_b32 v17, v13
	ds_load_b32 v18, v15
	;; [unrolled: 1-line block ×3, first 2 shown]
	v_add_nc_u32_e32 v16, 2, v16
	v_add_nc_u32_e32 v13, 8, v13
	s_delay_alu instid0(VALU_DEP_2) | instskip(NEXT) | instid1(VALU_DEP_1)
	v_cmp_le_i32_e64 s2, s25, v16
	s_or_b32 s16, s2, s16
	s_waitcnt lgkmcnt(0)
	v_fma_f32 v17, -v17, v18, v19
	ds_store_b32 v14, v17
	v_add_nc_u32_e32 v14, 8, v14
	s_and_not1_b32 exec_lo, exec_lo, s16
	s_cbranch_execnz .LBB4_178
	s_branch .LBB4_175
.LBB4_179:                              ;   in Loop: Header=BB4_160 Depth=1
	s_waitcnt lgkmcnt(0)
	buffer_gl0_inv
	s_and_saveexec_b32 s9, s0
	s_cbranch_execz .LBB4_189
; %bb.180:                              ;   in Loop: Header=BB4_160 Depth=1
	v_dual_mov_b32 v11, v8 :: v_dual_mov_b32 v12, v7
	v_mov_b32_e32 v2, v1
	s_mov_b32 s10, 0
	s_set_inst_prefetch_distance 0x1
	s_branch .LBB4_182
	.p2align	6
.LBB4_181:                              ;   in Loop: Header=BB4_182 Depth=2
	s_or_b32 exec_lo, exec_lo, s11
	v_add_nc_u32_e32 v2, 32, v2
	v_add_nc_u32_e32 v12, s7, v12
	;; [unrolled: 1-line block ×3, first 2 shown]
	s_delay_alu instid0(VALU_DEP_3) | instskip(SKIP_1) | instid1(SALU_CYCLE_1)
	v_cmp_le_i32_e32 vcc_lo, s25, v2
	s_or_b32 s10, vcc_lo, s10
	s_and_not1_b32 exec_lo, exec_lo, s10
	s_cbranch_execz .LBB4_189
.LBB4_182:                              ;   Parent Loop BB4_160 Depth=1
                                        ; =>  This Loop Header: Depth=2
                                        ;       Child Loop BB4_185 Depth 3
	s_and_saveexec_b32 s11, s1
	s_cbranch_execz .LBB4_181
; %bb.183:                              ;   in Loop: Header=BB4_182 Depth=2
	v_dual_mov_b32 v13, v11 :: v_dual_mov_b32 v14, v5
	s_mov_b32 s14, 0
	s_branch .LBB4_185
	.p2align	6
.LBB4_184:                              ;   in Loop: Header=BB4_185 Depth=3
	s_delay_alu instid0(VALU_DEP_1) | instskip(SKIP_2) | instid1(VALU_DEP_3)
	v_ashrrev_i32_e32 v4, 31, v3
	v_add_nc_u32_e32 v14, 2, v14
	v_add_nc_u32_e32 v13, 0x108, v13
	v_lshlrev_b64 v[3:4], 2, v[3:4]
	s_delay_alu instid0(VALU_DEP_3) | instskip(SKIP_1) | instid1(VALU_DEP_2)
	v_cmp_le_i32_e32 vcc_lo, s25, v14
	s_or_b32 s14, vcc_lo, s14
	v_add_co_u32 v3, s2, s12, v3
	s_delay_alu instid0(VALU_DEP_1)
	v_add_co_ci_u32_e64 v4, s2, s13, v4, s2
	s_waitcnt lgkmcnt(0)
	global_store_b32 v[3:4], v15, off
	s_and_not1_b32 exec_lo, exec_lo, s14
	s_cbranch_execz .LBB4_181
.LBB4_185:                              ;   Parent Loop BB4_160 Depth=1
                                        ;     Parent Loop BB4_182 Depth=2
                                        ; =>    This Inner Loop Header: Depth=3
	ds_load_b32 v15, v13
	s_and_b32 vcc_lo, exec_lo, s4
	s_cbranch_vccz .LBB4_187
; %bb.186:                              ;   in Loop: Header=BB4_185 Depth=3
	v_add_nc_u32_e32 v16, s8, v14
	s_delay_alu instid0(VALU_DEP_1)
	v_mad_u64_u32 v[3:4], null, v16, s25, v[2:3]
	s_cbranch_execnz .LBB4_184
	s_branch .LBB4_188
	.p2align	6
.LBB4_187:                              ;   in Loop: Header=BB4_185 Depth=3
                                        ; implicit-def: $vgpr3
.LBB4_188:                              ;   in Loop: Header=BB4_185 Depth=3
	v_add_nc_u32_e32 v3, v12, v14
	s_branch .LBB4_184
.LBB4_189:                              ;   in Loop: Header=BB4_160 Depth=1
	s_set_inst_prefetch_distance 0x2
	s_or_b32 exec_lo, exec_lo, s9
; %bb.190:                              ;   in Loop: Header=BB4_160 Depth=1
	v_add_nc_u32_e32 v7, s6, v7
	s_add_i32 s3, s3, 1
	s_delay_alu instid0(SALU_CYCLE_1)
	s_cmp_ge_i32 s3, s33
	s_cbranch_scc0 .LBB4_160
.LBB4_191:
	s_waitcnt vmcnt(0)
	v_and_b32_e32 v1, 0x3ff, v0
	v_bfe_u32 v0, v0, 10, 10
	s_mov_b32 s0, exec_lo
	s_delay_alu instid0(VALU_DEP_1) | instskip(NEXT) | instid1(VALU_DEP_1)
	v_or_b32_e32 v0, v1, v0
	v_cmpx_eq_u32_e32 0, v0
	s_cbranch_execz .LBB4_195
; %bb.192:
	v_dual_mov_b32 v0, 0 :: v_dual_mov_b32 v1, 1
	s_add_u32 s0, s20, s26
	s_addc_u32 s1, s21, s27
	s_and_not1_b32 vcc_lo, exec_lo, s23
	s_waitcnt_vscnt null, 0x0
	global_store_b32 v0, v1, s[0:1]
	s_cbranch_vccnz .LBB4_195
; %bb.193:
	v_mbcnt_lo_u32_b32 v0, exec_lo, 0
	s_delay_alu instid0(VALU_DEP_1)
	v_cmp_eq_u32_e32 vcc_lo, 0, v0
	s_and_b32 exec_lo, exec_lo, vcc_lo
	s_cbranch_execz .LBB4_195
; %bb.194:
	s_add_i32 s0, s22, s24
	s_delay_alu instid0(SALU_CYCLE_1)
	v_dual_mov_b32 v0, 0 :: v_dual_mov_b32 v1, s0
	global_atomic_min_i32 v0, v1, s[18:19]
.LBB4_195:
	s_nop 0
	s_sendmsg sendmsg(MSG_DEALLOC_VGPRS)
	s_endpgm
	.section	.rodata,"a",@progbits
	.p2align	6, 0x0
	.amdhsa_kernel _ZN9rocsparseL12bsrilu0_9_32ILj64ELj64ELj32EfEEv20rocsparse_direction_iPKiS3_PT2_S3_iPiS3_S6_21rocsparse_index_base_imNS_24const_host_device_scalarIfEENS8_IdEENS8_IS4_EEb
		.amdhsa_group_segment_fixed_size 8448
		.amdhsa_private_segment_fixed_size 0
		.amdhsa_kernarg_size 116
		.amdhsa_user_sgpr_count 15
		.amdhsa_user_sgpr_dispatch_ptr 0
		.amdhsa_user_sgpr_queue_ptr 0
		.amdhsa_user_sgpr_kernarg_segment_ptr 1
		.amdhsa_user_sgpr_dispatch_id 0
		.amdhsa_user_sgpr_private_segment_size 0
		.amdhsa_wavefront_size32 1
		.amdhsa_uses_dynamic_stack 0
		.amdhsa_enable_private_segment 0
		.amdhsa_system_sgpr_workgroup_id_x 1
		.amdhsa_system_sgpr_workgroup_id_y 0
		.amdhsa_system_sgpr_workgroup_id_z 0
		.amdhsa_system_sgpr_workgroup_info 0
		.amdhsa_system_vgpr_workitem_id 1
		.amdhsa_next_free_vgpr 37
		.amdhsa_next_free_sgpr 52
		.amdhsa_reserve_vcc 1
		.amdhsa_float_round_mode_32 0
		.amdhsa_float_round_mode_16_64 0
		.amdhsa_float_denorm_mode_32 3
		.amdhsa_float_denorm_mode_16_64 3
		.amdhsa_dx10_clamp 1
		.amdhsa_ieee_mode 1
		.amdhsa_fp16_overflow 0
		.amdhsa_workgroup_processor_mode 1
		.amdhsa_memory_ordered 1
		.amdhsa_forward_progress 0
		.amdhsa_shared_vgpr_count 0
		.amdhsa_exception_fp_ieee_invalid_op 0
		.amdhsa_exception_fp_denorm_src 0
		.amdhsa_exception_fp_ieee_div_zero 0
		.amdhsa_exception_fp_ieee_overflow 0
		.amdhsa_exception_fp_ieee_underflow 0
		.amdhsa_exception_fp_ieee_inexact 0
		.amdhsa_exception_int_div_zero 0
	.end_amdhsa_kernel
	.section	.text._ZN9rocsparseL12bsrilu0_9_32ILj64ELj64ELj32EfEEv20rocsparse_direction_iPKiS3_PT2_S3_iPiS3_S6_21rocsparse_index_base_imNS_24const_host_device_scalarIfEENS8_IdEENS8_IS4_EEb,"axG",@progbits,_ZN9rocsparseL12bsrilu0_9_32ILj64ELj64ELj32EfEEv20rocsparse_direction_iPKiS3_PT2_S3_iPiS3_S6_21rocsparse_index_base_imNS_24const_host_device_scalarIfEENS8_IdEENS8_IS4_EEb,comdat
.Lfunc_end4:
	.size	_ZN9rocsparseL12bsrilu0_9_32ILj64ELj64ELj32EfEEv20rocsparse_direction_iPKiS3_PT2_S3_iPiS3_S6_21rocsparse_index_base_imNS_24const_host_device_scalarIfEENS8_IdEENS8_IS4_EEb, .Lfunc_end4-_ZN9rocsparseL12bsrilu0_9_32ILj64ELj64ELj32EfEEv20rocsparse_direction_iPKiS3_PT2_S3_iPiS3_S6_21rocsparse_index_base_imNS_24const_host_device_scalarIfEENS8_IdEENS8_IS4_EEb
                                        ; -- End function
	.section	.AMDGPU.csdata,"",@progbits
; Kernel info:
; codeLenInByte = 6128
; NumSgprs: 54
; NumVgprs: 37
; ScratchSize: 0
; MemoryBound: 0
; FloatMode: 240
; IeeeMode: 1
; LDSByteSize: 8448 bytes/workgroup (compile time only)
; SGPRBlocks: 6
; VGPRBlocks: 4
; NumSGPRsForWavesPerEU: 54
; NumVGPRsForWavesPerEU: 37
; Occupancy: 8
; WaveLimiterHint : 1
; COMPUTE_PGM_RSRC2:SCRATCH_EN: 0
; COMPUTE_PGM_RSRC2:USER_SGPR: 15
; COMPUTE_PGM_RSRC2:TRAP_HANDLER: 0
; COMPUTE_PGM_RSRC2:TGID_X_EN: 1
; COMPUTE_PGM_RSRC2:TGID_Y_EN: 0
; COMPUTE_PGM_RSRC2:TGID_Z_EN: 0
; COMPUTE_PGM_RSRC2:TIDIG_COMP_CNT: 1
	.section	.text._ZN9rocsparseL13bsrilu0_33_64ILj64ELj64ELj64EfEEv20rocsparse_direction_iPKiS3_PT2_S3_iPiS3_S6_21rocsparse_index_base_imNS_24const_host_device_scalarIfEENS8_IdEENS8_IS4_EEb,"axG",@progbits,_ZN9rocsparseL13bsrilu0_33_64ILj64ELj64ELj64EfEEv20rocsparse_direction_iPKiS3_PT2_S3_iPiS3_S6_21rocsparse_index_base_imNS_24const_host_device_scalarIfEENS8_IdEENS8_IS4_EEb,comdat
	.globl	_ZN9rocsparseL13bsrilu0_33_64ILj64ELj64ELj64EfEEv20rocsparse_direction_iPKiS3_PT2_S3_iPiS3_S6_21rocsparse_index_base_imNS_24const_host_device_scalarIfEENS8_IdEENS8_IS4_EEb ; -- Begin function _ZN9rocsparseL13bsrilu0_33_64ILj64ELj64ELj64EfEEv20rocsparse_direction_iPKiS3_PT2_S3_iPiS3_S6_21rocsparse_index_base_imNS_24const_host_device_scalarIfEENS8_IdEENS8_IS4_EEb
	.p2align	8
	.type	_ZN9rocsparseL13bsrilu0_33_64ILj64ELj64ELj64EfEEv20rocsparse_direction_iPKiS3_PT2_S3_iPiS3_S6_21rocsparse_index_base_imNS_24const_host_device_scalarIfEENS8_IdEENS8_IS4_EEb,@function
_ZN9rocsparseL13bsrilu0_33_64ILj64ELj64ELj64EfEEv20rocsparse_direction_iPKiS3_PT2_S3_iPiS3_S6_21rocsparse_index_base_imNS_24const_host_device_scalarIfEENS8_IdEENS8_IS4_EEb: ; @_ZN9rocsparseL13bsrilu0_33_64ILj64ELj64ELj64EfEEv20rocsparse_direction_iPKiS3_PT2_S3_iPiS3_S6_21rocsparse_index_base_imNS_24const_host_device_scalarIfEENS8_IdEENS8_IS4_EEb
; %bb.0:
	s_clause 0x2
	s_load_b32 s3, s[0:1], 0x70
	s_load_b64 s[24:25], s[0:1], 0x48
	s_load_b256 s[16:23], s[0:1], 0x50
	s_mov_b32 s2, s15
	s_waitcnt lgkmcnt(0)
	s_bitcmp1_b32 s3, 0
	s_cselect_b32 s3, -1, 0
	s_cmp_lg_u32 s25, 0
	s_cselect_b32 s29, -1, 0
	s_cmp_eq_u32 s25, 0
	s_cselect_b32 s6, -1, 0
	s_delay_alu instid0(SALU_CYCLE_1) | instskip(SKIP_3) | instid1(SALU_CYCLE_1)
	s_and_b32 s4, s6, exec_lo
	s_cselect_b32 s4, 0, s20
	s_cselect_b32 s5, 0, s21
	s_or_b32 s3, s6, s3
	s_and_b32 vcc_lo, exec_lo, s3
	s_xor_b32 s3, s3, -1
	s_cbranch_vccnz .LBB5_2
; %bb.1:
	s_load_b32 s4, s[18:19], 0x0
	s_waitcnt lgkmcnt(0)
	v_mov_b32_e32 v11, s4
	s_mov_b64 s[4:5], s[20:21]
	s_branch .LBB5_3
.LBB5_2:
	v_cndmask_b32_e64 v11, s18, 0, s6
.LBB5_3:
	v_cndmask_b32_e64 v3, 0, 1, s3
	v_dual_mov_b32 v1, s4 :: v_dual_mov_b32 v2, s5
	s_and_not1_b32 vcc_lo, exec_lo, s3
	s_cbranch_vccnz .LBB5_5
; %bb.4:
	v_dual_mov_b32 v1, s20 :: v_dual_mov_b32 v2, s21
	flat_load_b64 v[1:2], v[1:2]
.LBB5_5:
	s_delay_alu instid0(VALU_DEP_2)
	v_cmp_ne_u32_e32 vcc_lo, 1, v3
	s_mov_b32 s3, 0
	s_cbranch_vccnz .LBB5_7
; %bb.6:
	s_load_b32 s4, s[22:23], 0x0
	s_waitcnt lgkmcnt(0)
	v_mov_b32_e32 v10, s4
	s_branch .LBB5_8
.LBB5_7:
	v_cndmask_b32_e64 v10, s22, 0, s6
.LBB5_8:
	s_clause 0x1
	s_load_b128 s[20:23], s[0:1], 0x30
	s_load_b64 s[18:19], s[0:1], 0x40
	s_lshl_b64 s[2:3], s[2:3], 2
	s_waitcnt lgkmcnt(0)
	s_add_u32 s2, s22, s2
	s_addc_u32 s3, s23, s3
	s_load_b32 s22, s[2:3], 0x0
	s_load_b256 s[8:15], s[0:1], 0x8
	s_waitcnt lgkmcnt(0)
	s_ashr_i32 s23, s22, 31
	s_delay_alu instid0(SALU_CYCLE_1) | instskip(NEXT) | instid1(SALU_CYCLE_1)
	s_lshl_b64 s[26:27], s[22:23], 2
	s_add_u32 s2, s14, s26
	s_addc_u32 s3, s15, s27
	s_load_b32 s30, s[2:3], 0x0
	s_waitcnt lgkmcnt(0)
	s_cmp_eq_u32 s30, -1
	s_cbranch_scc1 .LBB5_102
; %bb.9:
	s_add_u32 s2, s8, s26
	s_addc_u32 s3, s9, s27
	s_mov_b32 s25, 0
	s_load_b64 s[2:3], s[2:3], 0x0
	s_clause 0x1
	s_load_b64 s[34:35], s[0:1], 0x0
	s_load_b32 s28, s[0:1], 0x28
	s_waitcnt lgkmcnt(0)
	s_sub_i32 s36, s2, s24
	s_sub_i32 s23, s3, s24
	s_cmp_ge_i32 s36, s30
	s_cbranch_scc1 .LBB5_91
; %bb.10:
	v_and_b32_e32 v3, 0x3ff, v0
	v_bfe_u32 v12, v0, 10, 10
	s_cmp_lg_u32 s34, 0
	s_mov_b32 s38, 0
	s_cselect_b32 s31, -1, 0
	v_lshlrev_b32_e32 v9, 2, v3
	v_lshl_or_b32 v4, v12, 6, v3
	v_add_nc_u32_e32 v13, 1, v12
	s_cmp_gt_i32 s28, 0
	v_cmp_gt_i32_e64 s0, s28, v3
	s_delay_alu instid0(VALU_DEP_3)
	v_dual_mov_b32 v19, 0 :: v_dual_add_nc_u32 v4, s36, v4
	s_cselect_b32 s33, -1, 0
	s_add_i32 s35, s35, 1
	v_cmp_le_i32_e64 s1, s28, v3
	v_cmp_gt_i32_e64 s2, s28, v12
	v_mad_u64_u32 v[6:7], null, s28, s36, v[3:4]
	v_ashrrev_i32_e32 v5, 31, v4
	v_cmp_eq_u32_e64 s3, 0, v12
	s_add_u32 s39, s8, 4
	v_cmp_gt_i32_e64 s4, s23, v4
	v_mul_u32_u24_e32 v15, 0x104, v12
	v_lshlrev_b64 v[7:8], 2, v[4:5]
	v_mul_lo_u32 v14, s28, v6
	v_mad_u32_u24 v16, 0x104, v12, v9
	v_mad_u32_u24 v18, 0x104, v12, 0x104
	s_addc_u32 s9, s9, 0
	s_add_u32 s40, s10, 0x100
	v_add_co_u32 v5, vcc_lo, s10, v7
	v_add_co_ci_u32_e32 v6, vcc_lo, s11, v8, vcc_lo
	v_add_nc_u32_e32 v17, v13, v14
	s_addc_u32 s41, s11, 0
	s_lshl_b32 s42, s28, 6
	s_mul_i32 s43, s28, s28
.LBB5_11:                               ; =>This Loop Header: Depth=1
                                        ;     Child Loop BB5_13 Depth 2
                                        ;     Child Loop BB5_17 Depth 2
                                        ;       Child Loop BB5_20 Depth 3
                                        ;     Child Loop BB5_27 Depth 2
                                        ;       Child Loop BB5_30 Depth 3
                                        ;         Child Loop BB5_41 Depth 4
                                        ;     Child Loop BB5_52 Depth 2
                                        ;       Child Loop BB5_57 Depth 3
                                        ;       Child Loop BB5_66 Depth 3
                                        ;         Child Loop BB5_69 Depth 4
                                        ;       Child Loop BB5_75 Depth 3
                                        ;         Child Loop BB5_78 Depth 4
                                        ;           Child Loop BB5_80 Depth 5
	s_ashr_i32 s37, s36, 31
	s_mov_b32 s25, -1
	s_lshl_b64 s[6:7], s[36:37], 2
	s_delay_alu instid0(SALU_CYCLE_1) | instskip(SKIP_4) | instid1(VALU_DEP_1)
	s_add_u32 s6, s10, s6
	s_addc_u32 s7, s11, s7
	global_load_b32 v7, v19, s[6:7]
	s_waitcnt vmcnt(0)
	v_readfirstlane_b32 s5, v7
	s_sub_i32 s6, s5, s24
	s_delay_alu instid0(SALU_CYCLE_1) | instskip(NEXT) | instid1(SALU_CYCLE_1)
	s_ashr_i32 s7, s6, 31
	s_lshl_b64 s[6:7], s[6:7], 2
	s_delay_alu instid0(SALU_CYCLE_1)
	s_add_u32 s44, s14, s6
	s_addc_u32 s45, s15, s7
	global_load_b32 v7, v19, s[44:45]
	s_waitcnt vmcnt(0)
	v_cmp_eq_u32_e32 vcc_lo, -1, v7
	v_readfirstlane_b32 s37, v7
	v_cmp_ne_u32_e64 s5, -1, v7
	s_cbranch_vccnz .LBB5_89
; %bb.12:                               ;   in Loop: Header=BB5_11 Depth=1
	s_add_u32 s44, s39, s6
	s_addc_u32 s45, s9, s7
	s_add_u32 s6, s20, s6
	global_load_b32 v7, v19, s[44:45]
	s_addc_u32 s7, s21, s7
	s_waitcnt vmcnt(0)
	v_readfirstlane_b32 s44, v7
.LBB5_13:                               ;   Parent Loop BB5_11 Depth=1
                                        ; =>  This Inner Loop Header: Depth=2
	global_load_b32 v7, v19, s[6:7] glc
	s_waitcnt vmcnt(0)
	v_cmp_eq_u32_e32 vcc_lo, 0, v7
	s_cbranch_vccnz .LBB5_13
; %bb.14:                               ;   in Loop: Header=BB5_11 Depth=1
	buffer_gl1_inv
	buffer_gl0_inv
	s_and_saveexec_b32 s6, s0
	s_cbranch_execz .LBB5_24
; %bb.15:                               ;   in Loop: Header=BB5_11 Depth=1
	s_mul_i32 s7, s37, s28
	s_waitcnt lgkmcnt(0)
	v_mov_b32_e32 v21, v16
	v_add_nc_u32_e32 v7, s7, v3
	s_mov_b32 s8, 0
	s_delay_alu instid0(VALU_DEP_1)
	v_mul_lo_u32 v20, s28, v7
	v_mov_b32_e32 v7, v3
	s_set_inst_prefetch_distance 0x1
	s_branch .LBB5_17
	.p2align	6
.LBB5_16:                               ;   in Loop: Header=BB5_17 Depth=2
	s_or_b32 exec_lo, exec_lo, s25
	v_add_nc_u32_e32 v7, 64, v7
	v_add_nc_u32_e32 v20, s42, v20
	;; [unrolled: 1-line block ×3, first 2 shown]
	s_delay_alu instid0(VALU_DEP_3) | instskip(SKIP_1) | instid1(SALU_CYCLE_1)
	v_cmp_le_i32_e32 vcc_lo, s28, v7
	s_or_b32 s8, vcc_lo, s8
	s_and_not1_b32 exec_lo, exec_lo, s8
	s_cbranch_execz .LBB5_24
.LBB5_17:                               ;   Parent Loop BB5_11 Depth=1
                                        ; =>  This Loop Header: Depth=2
                                        ;       Child Loop BB5_20 Depth 3
	s_and_saveexec_b32 s25, s2
	s_cbranch_execz .LBB5_16
; %bb.18:                               ;   in Loop: Header=BB5_17 Depth=2
	v_dual_mov_b32 v22, v21 :: v_dual_mov_b32 v23, v12
	s_mov_b32 s45, 0
	s_branch .LBB5_20
	.p2align	6
.LBB5_19:                               ;   in Loop: Header=BB5_20 Depth=3
	s_delay_alu instid0(VALU_DEP_1) | instskip(SKIP_1) | instid1(VALU_DEP_2)
	v_ashrrev_i32_e32 v9, 31, v8
	v_add_nc_u32_e32 v23, 1, v23
	v_lshlrev_b64 v[8:9], 2, v[8:9]
	s_delay_alu instid0(VALU_DEP_1) | instskip(NEXT) | instid1(VALU_DEP_2)
	v_add_co_u32 v8, vcc_lo, s12, v8
	v_add_co_ci_u32_e32 v9, vcc_lo, s13, v9, vcc_lo
	s_delay_alu instid0(VALU_DEP_4)
	v_cmp_le_i32_e32 vcc_lo, s28, v23
	global_load_b32 v8, v[8:9], off
	s_or_b32 s45, vcc_lo, s45
	s_waitcnt vmcnt(0)
	ds_store_b32 v22, v8
	v_add_nc_u32_e32 v22, 0x104, v22
	s_and_not1_b32 exec_lo, exec_lo, s45
	s_cbranch_execz .LBB5_16
.LBB5_20:                               ;   Parent Loop BB5_11 Depth=1
                                        ;     Parent Loop BB5_17 Depth=2
                                        ; =>    This Inner Loop Header: Depth=3
	s_and_b32 vcc_lo, exec_lo, s31
	s_cbranch_vccz .LBB5_22
; %bb.21:                               ;   in Loop: Header=BB5_20 Depth=3
	v_add_nc_u32_e32 v24, s7, v23
	s_delay_alu instid0(VALU_DEP_1)
	v_mad_u64_u32 v[8:9], null, v24, s28, v[7:8]
	s_cbranch_execnz .LBB5_19
	s_branch .LBB5_23
	.p2align	6
.LBB5_22:                               ;   in Loop: Header=BB5_20 Depth=3
                                        ; implicit-def: $vgpr8
.LBB5_23:                               ;   in Loop: Header=BB5_20 Depth=3
	v_add_nc_u32_e32 v8, v20, v23
	s_branch .LBB5_19
.LBB5_24:                               ;   in Loop: Header=BB5_11 Depth=1
	s_set_inst_prefetch_distance 0x2
	s_or_b32 exec_lo, exec_lo, s6
	s_delay_alu instid0(SALU_CYCLE_1)
	s_and_not1_b32 vcc_lo, exec_lo, s33
	s_mul_i32 s25, s36, s28
	s_waitcnt lgkmcnt(0)
	buffer_gl0_inv
	s_cbranch_vccnz .LBB5_47
; %bb.25:                               ;   in Loop: Header=BB5_11 Depth=1
	v_dual_mov_b32 v20, v18 :: v_dual_mov_b32 v21, v17
	s_mov_b32 s8, 0
	s_branch .LBB5_27
.LBB5_26:                               ;   in Loop: Header=BB5_27 Depth=2
	s_or_b32 exec_lo, exec_lo, s45
	v_add_nc_u32_e32 v21, 1, v21
	v_add_nc_u32_e32 v20, 0x108, v20
	s_add_i32 s8, s8, 1
	s_delay_alu instid0(SALU_CYCLE_1)
	s_cmp_eq_u32 s8, s28
	s_cbranch_scc1 .LBB5_47
.LBB5_27:                               ;   Parent Loop BB5_11 Depth=1
                                        ; =>  This Loop Header: Depth=2
                                        ;       Child Loop BB5_30 Depth 3
                                        ;         Child Loop BB5_41 Depth 4
	s_and_saveexec_b32 s45, s0
	s_cbranch_execz .LBB5_26
; %bb.28:                               ;   in Loop: Header=BB5_27 Depth=2
	s_lshl_b32 s6, s8, 2
	s_mul_i32 s7, s8, 0x104
	v_add_nc_u32_e32 v23, s8, v13
	s_add_i32 s6, s7, s6
	s_delay_alu instid0(SALU_CYCLE_1) | instskip(SKIP_1) | instid1(VALU_DEP_2)
	v_dual_mov_b32 v24, v21 :: v_dual_mov_b32 v7, s6
	s_add_i32 s46, s8, s25
	v_cmp_gt_i32_e64 s6, s28, v23
	s_mul_i32 s46, s46, s28
	s_mov_b32 s47, 0
	ds_load_b32 v22, v7
	v_mov_b32_e32 v7, v3
	s_branch .LBB5_30
.LBB5_29:                               ;   in Loop: Header=BB5_30 Depth=3
	s_set_inst_prefetch_distance 0x2
	s_or_b32 exec_lo, exec_lo, s48
	v_add_nc_u32_e32 v7, 64, v7
	v_add_nc_u32_e32 v24, s42, v24
	s_delay_alu instid0(VALU_DEP_2) | instskip(SKIP_1) | instid1(SALU_CYCLE_1)
	v_cmp_le_i32_e32 vcc_lo, s28, v7
	s_or_b32 s47, vcc_lo, s47
	s_and_not1_b32 exec_lo, exec_lo, s47
	s_cbranch_execz .LBB5_26
.LBB5_30:                               ;   Parent Loop BB5_11 Depth=1
                                        ;     Parent Loop BB5_27 Depth=2
                                        ; =>    This Loop Header: Depth=3
                                        ;         Child Loop BB5_41 Depth 4
	s_and_b32 vcc_lo, exec_lo, s31
	s_cbranch_vccz .LBB5_45
; %bb.31:                               ;   in Loop: Header=BB5_30 Depth=3
	s_delay_alu instid0(VALU_DEP_1)
	v_add_nc_u32_e32 v8, s46, v7
	s_cbranch_execnz .LBB5_33
.LBB5_32:                               ;   in Loop: Header=BB5_30 Depth=3
	v_add_nc_u32_e32 v25, s25, v7
	s_delay_alu instid0(VALU_DEP_1)
	v_mad_u64_u32 v[8:9], null, v25, s28, s[8:9]
.LBB5_33:                               ;   in Loop: Header=BB5_30 Depth=3
	s_delay_alu instid0(VALU_DEP_1) | instskip(NEXT) | instid1(VALU_DEP_1)
	v_ashrrev_i32_e32 v9, 31, v8
	v_lshlrev_b64 v[8:9], 2, v[8:9]
	s_delay_alu instid0(VALU_DEP_1) | instskip(NEXT) | instid1(VALU_DEP_2)
	v_add_co_u32 v8, vcc_lo, s12, v8
	v_add_co_ci_u32_e32 v9, vcc_lo, s13, v9, vcc_lo
	global_load_b32 v8, v[8:9], off
	s_waitcnt vmcnt(0) lgkmcnt(0)
	v_div_scale_f32 v9, null, v22, v22, v8
	s_delay_alu instid0(VALU_DEP_1) | instskip(SKIP_2) | instid1(VALU_DEP_1)
	v_rcp_f32_e32 v25, v9
	s_waitcnt_depctr 0xfff
	v_fma_f32 v26, -v9, v25, 1.0
	v_fmac_f32_e32 v25, v26, v25
	v_div_scale_f32 v26, vcc_lo, v8, v22, v8
	s_delay_alu instid0(VALU_DEP_1) | instskip(NEXT) | instid1(VALU_DEP_1)
	v_mul_f32_e32 v27, v26, v25
	v_fma_f32 v28, -v9, v27, v26
	s_delay_alu instid0(VALU_DEP_1) | instskip(NEXT) | instid1(VALU_DEP_1)
	v_fmac_f32_e32 v27, v28, v25
	v_fma_f32 v9, -v9, v27, v26
	s_delay_alu instid0(VALU_DEP_1) | instskip(NEXT) | instid1(VALU_DEP_1)
	v_div_fmas_f32 v9, v9, v25, v27
	v_div_fixup_f32 v25, v9, v22, v8
	s_and_saveexec_b32 s7, s3
	s_cbranch_execz .LBB5_38
; %bb.34:                               ;   in Loop: Header=BB5_30 Depth=3
	s_and_b32 vcc_lo, exec_lo, s31
	s_cbranch_vccz .LBB5_46
; %bb.35:                               ;   in Loop: Header=BB5_30 Depth=3
	v_add_nc_u32_e32 v8, s46, v7
	s_cbranch_execnz .LBB5_37
.LBB5_36:                               ;   in Loop: Header=BB5_30 Depth=3
	v_add_nc_u32_e32 v26, s25, v7
	s_delay_alu instid0(VALU_DEP_1)
	v_mad_u64_u32 v[8:9], null, v26, s28, s[8:9]
.LBB5_37:                               ;   in Loop: Header=BB5_30 Depth=3
	s_delay_alu instid0(VALU_DEP_1) | instskip(NEXT) | instid1(VALU_DEP_1)
	v_ashrrev_i32_e32 v9, 31, v8
	v_lshlrev_b64 v[8:9], 2, v[8:9]
	s_delay_alu instid0(VALU_DEP_1) | instskip(NEXT) | instid1(VALU_DEP_2)
	v_add_co_u32 v8, vcc_lo, s12, v8
	v_add_co_ci_u32_e32 v9, vcc_lo, s13, v9, vcc_lo
	global_store_b32 v[8:9], v25, off
.LBB5_38:                               ;   in Loop: Header=BB5_30 Depth=3
	s_or_b32 exec_lo, exec_lo, s7
	s_and_saveexec_b32 s48, s6
	s_cbranch_execz .LBB5_29
; %bb.39:                               ;   in Loop: Header=BB5_30 Depth=3
	v_mov_b32_e32 v26, v20
	v_dual_mov_b32 v27, v24 :: v_dual_mov_b32 v28, v23
	s_mov_b32 s49, 0
	s_set_inst_prefetch_distance 0x1
	s_branch .LBB5_41
	.p2align	6
.LBB5_40:                               ;   in Loop: Header=BB5_41 Depth=4
	s_delay_alu instid0(VALU_DEP_1)
	v_ashrrev_i32_e32 v9, 31, v8
	v_add_nc_u32_e32 v28, 1, v28
	s_waitcnt vmcnt(0) lgkmcnt(0)
	v_fma_f32 v29, -v25, v29, v31
	v_add_nc_u32_e32 v27, 1, v27
	v_add_nc_u32_e32 v26, 0x104, v26
	v_lshlrev_b64 v[8:9], 2, v[8:9]
	v_cmp_le_i32_e32 vcc_lo, s28, v28
	s_or_b32 s49, vcc_lo, s49
	s_delay_alu instid0(VALU_DEP_2) | instskip(NEXT) | instid1(VALU_DEP_1)
	v_add_co_u32 v8, s7, s12, v8
	v_add_co_ci_u32_e64 v9, s7, s13, v9, s7
	global_store_b32 v[8:9], v29, off
	s_and_not1_b32 exec_lo, exec_lo, s49
	s_cbranch_execz .LBB5_29
.LBB5_41:                               ;   Parent Loop BB5_11 Depth=1
                                        ;     Parent Loop BB5_27 Depth=2
                                        ;       Parent Loop BB5_30 Depth=3
                                        ; =>      This Inner Loop Header: Depth=4
	ds_load_b32 v29, v26
	v_add_nc_u32_e32 v30, s25, v28
	v_mov_b32_e32 v8, v27
	s_and_not1_b32 vcc_lo, exec_lo, s31
	s_cbranch_vccnz .LBB5_43
; %bb.42:                               ;   in Loop: Header=BB5_41 Depth=4
	s_delay_alu instid0(VALU_DEP_1)
	v_mad_u64_u32 v[8:9], null, v30, s28, v[7:8]
.LBB5_43:                               ;   in Loop: Header=BB5_41 Depth=4
	s_delay_alu instid0(VALU_DEP_1) | instskip(NEXT) | instid1(VALU_DEP_1)
	v_ashrrev_i32_e32 v9, 31, v8
	v_lshlrev_b64 v[8:9], 2, v[8:9]
	s_delay_alu instid0(VALU_DEP_1) | instskip(NEXT) | instid1(VALU_DEP_2)
	v_add_co_u32 v8, vcc_lo, s12, v8
	v_add_co_ci_u32_e32 v9, vcc_lo, s13, v9, vcc_lo
	s_and_not1_b32 vcc_lo, exec_lo, s31
	global_load_b32 v31, v[8:9], off
	v_mov_b32_e32 v8, v27
	s_cbranch_vccnz .LBB5_40
; %bb.44:                               ;   in Loop: Header=BB5_41 Depth=4
	s_delay_alu instid0(VALU_DEP_1)
	v_mad_u64_u32 v[8:9], null, v30, s28, v[7:8]
	s_branch .LBB5_40
.LBB5_45:                               ;   in Loop: Header=BB5_30 Depth=3
                                        ; implicit-def: $vgpr8
	s_branch .LBB5_32
.LBB5_46:                               ;   in Loop: Header=BB5_30 Depth=3
                                        ; implicit-def: $vgpr8
	s_branch .LBB5_36
.LBB5_47:                               ;   in Loop: Header=BB5_11 Depth=1
	s_sub_i32 s8, s44, s24
	s_add_i32 s6, s37, 1
	s_waitcnt_vscnt null, 0x0
	buffer_gl0_inv
	s_cmp_ge_i32 s6, s8
	s_cbranch_scc1 .LBB5_88
; %bb.48:                               ;   in Loop: Header=BB5_11 Depth=1
	v_mad_u64_u32 v[7:8], null, s28, s6, v[3:4]
	s_delay_alu instid0(VALU_DEP_1)
	v_mul_lo_u32 v20, s28, v7
	s_branch .LBB5_52
.LBB5_49:                               ;   in Loop: Header=BB5_52 Depth=2
	s_or_b32 exec_lo, exec_lo, s37
.LBB5_50:                               ;   in Loop: Header=BB5_52 Depth=2
	s_delay_alu instid0(SALU_CYCLE_1)
	s_or_b32 exec_lo, exec_lo, s7
.LBB5_51:                               ;   in Loop: Header=BB5_52 Depth=2
	v_add_nc_u32_e32 v20, s43, v20
	s_add_i32 s6, s6, 1
	s_delay_alu instid0(SALU_CYCLE_1)
	s_cmp_lt_i32 s6, s8
	s_cbranch_scc0 .LBB5_88
.LBB5_52:                               ;   Parent Loop BB5_11 Depth=1
                                        ; =>  This Loop Header: Depth=2
                                        ;       Child Loop BB5_57 Depth 3
                                        ;       Child Loop BB5_66 Depth 3
                                        ;         Child Loop BB5_69 Depth 4
                                        ;       Child Loop BB5_75 Depth 3
                                        ;         Child Loop BB5_78 Depth 4
                                        ;           Child Loop BB5_80 Depth 5
	s_ashr_i32 s7, s6, 31
	v_mov_b32_e32 v8, s35
	s_lshl_b64 s[44:45], s[6:7], 2
	s_delay_alu instid0(SALU_CYCLE_1)
	s_add_u32 s44, s10, s44
	s_addc_u32 s45, s11, s45
	global_load_b32 v7, v19, s[44:45]
	s_and_saveexec_b32 s7, s4
	s_cbranch_execz .LBB5_54
; %bb.53:                               ;   in Loop: Header=BB5_52 Depth=2
	global_load_b32 v8, v[5:6], off
	s_waitcnt vmcnt(0)
	v_subrev_nc_u32_e32 v8, s24, v8
.LBB5_54:                               ;   in Loop: Header=BB5_52 Depth=2
	s_or_b32 exec_lo, exec_lo, s7
	s_waitcnt vmcnt(0)
	v_subrev_nc_u32_e32 v9, s24, v7
	s_waitcnt lgkmcnt(0)
	v_mov_b32_e32 v21, v4
	s_mov_b32 s7, exec_lo
	s_delay_alu instid0(VALU_DEP_2)
	v_cmpx_lt_i32_e64 v8, v9
	s_cbranch_execz .LBB5_60
; %bb.55:                               ;   in Loop: Header=BB5_52 Depth=2
	v_mov_b32_e32 v7, v4
	s_mov_b32 s37, 0
	s_branch .LBB5_57
	.p2align	6
.LBB5_56:                               ;   in Loop: Header=BB5_57 Depth=3
	s_or_b32 exec_lo, exec_lo, s44
	s_delay_alu instid0(VALU_DEP_1) | instskip(SKIP_2) | instid1(SALU_CYCLE_1)
	v_cmp_ge_i32_e32 vcc_lo, v8, v9
	v_mov_b32_e32 v7, v21
	s_or_b32 s37, vcc_lo, s37
	s_and_not1_b32 exec_lo, exec_lo, s37
	s_cbranch_execz .LBB5_59
.LBB5_57:                               ;   Parent Loop BB5_11 Depth=1
                                        ;     Parent Loop BB5_52 Depth=2
                                        ; =>    This Inner Loop Header: Depth=3
	s_delay_alu instid0(VALU_DEP_1) | instskip(SKIP_1) | instid1(VALU_DEP_1)
	v_dual_mov_b32 v8, s35 :: v_dual_add_nc_u32 v21, 64, v7
	s_mov_b32 s44, exec_lo
	v_cmpx_gt_i32_e64 s23, v21
	s_cbranch_execz .LBB5_56
; %bb.58:                               ;   in Loop: Header=BB5_57 Depth=3
	v_ashrrev_i32_e32 v8, 31, v7
	s_delay_alu instid0(VALU_DEP_1) | instskip(NEXT) | instid1(VALU_DEP_1)
	v_lshlrev_b64 v[7:8], 2, v[7:8]
	v_add_co_u32 v7, vcc_lo, s40, v7
	s_delay_alu instid0(VALU_DEP_2)
	v_add_co_ci_u32_e32 v8, vcc_lo, s41, v8, vcc_lo
	global_load_b32 v7, v[7:8], off
	s_waitcnt vmcnt(0)
	v_subrev_nc_u32_e32 v8, s24, v7
	s_branch .LBB5_56
.LBB5_59:                               ;   in Loop: Header=BB5_52 Depth=2
	s_or_b32 exec_lo, exec_lo, s37
.LBB5_60:                               ;   in Loop: Header=BB5_52 Depth=2
	s_delay_alu instid0(SALU_CYCLE_1)
	s_or_b32 exec_lo, exec_lo, s7
	v_cmp_eq_u32_e32 vcc_lo, v8, v9
	s_cbranch_vccz .LBB5_51
; %bb.61:                               ;   in Loop: Header=BB5_52 Depth=2
	s_ctz_i32_b32 s7, vcc_lo
	s_delay_alu instid0(SALU_CYCLE_1) | instskip(NEXT) | instid1(SALU_CYCLE_1)
	s_lshl_b32 s7, s7, 2
	v_mov_b32_e32 v7, s7
	ds_bpermute_b32 v21, v7, v21
	s_and_saveexec_b32 s7, s1
	s_delay_alu instid0(SALU_CYCLE_1)
	s_xor_b32 s7, exec_lo, s7
	s_cbranch_execz .LBB5_63
; %bb.62:                               ;   in Loop: Header=BB5_52 Depth=2
	s_waitcnt lgkmcnt(0)
	buffer_gl0_inv
                                        ; implicit-def: $vgpr21
.LBB5_63:                               ;   in Loop: Header=BB5_52 Depth=2
	s_and_not1_saveexec_b32 s7, s7
	s_cbranch_execz .LBB5_50
; %bb.64:                               ;   in Loop: Header=BB5_52 Depth=2
	v_dual_mov_b32 v22, v16 :: v_dual_mov_b32 v7, v3
	v_mov_b32_e32 v23, v20
	s_mul_i32 s44, s6, s28
	s_mov_b32 s37, 0
	s_set_inst_prefetch_distance 0x1
	s_branch .LBB5_66
	.p2align	6
.LBB5_65:                               ;   in Loop: Header=BB5_66 Depth=3
	s_or_b32 exec_lo, exec_lo, s45
	v_add_nc_u32_e32 v7, 64, v7
	v_add_nc_u32_e32 v23, s42, v23
	;; [unrolled: 1-line block ×3, first 2 shown]
	s_delay_alu instid0(VALU_DEP_3) | instskip(SKIP_1) | instid1(SALU_CYCLE_1)
	v_cmp_le_i32_e32 vcc_lo, s28, v7
	s_or_b32 s37, vcc_lo, s37
	s_and_not1_b32 exec_lo, exec_lo, s37
	s_cbranch_execz .LBB5_73
.LBB5_66:                               ;   Parent Loop BB5_11 Depth=1
                                        ;     Parent Loop BB5_52 Depth=2
                                        ; =>    This Loop Header: Depth=3
                                        ;         Child Loop BB5_69 Depth 4
	s_and_saveexec_b32 s45, s2
	s_cbranch_execz .LBB5_65
; %bb.67:                               ;   in Loop: Header=BB5_66 Depth=3
	v_dual_mov_b32 v24, v22 :: v_dual_mov_b32 v25, v12
	s_mov_b32 s46, 0
	s_branch .LBB5_69
	.p2align	6
.LBB5_68:                               ;   in Loop: Header=BB5_69 Depth=4
	s_delay_alu instid0(VALU_DEP_1) | instskip(SKIP_1) | instid1(VALU_DEP_2)
	v_ashrrev_i32_e32 v9, 31, v8
	v_add_nc_u32_e32 v25, 1, v25
	v_lshlrev_b64 v[8:9], 2, v[8:9]
	s_delay_alu instid0(VALU_DEP_1) | instskip(NEXT) | instid1(VALU_DEP_2)
	v_add_co_u32 v8, vcc_lo, s12, v8
	v_add_co_ci_u32_e32 v9, vcc_lo, s13, v9, vcc_lo
	s_delay_alu instid0(VALU_DEP_4)
	v_cmp_le_i32_e32 vcc_lo, s28, v25
	global_load_b32 v8, v[8:9], off
	s_or_b32 s46, vcc_lo, s46
	s_waitcnt vmcnt(0)
	ds_store_b32 v24, v8
	v_add_nc_u32_e32 v24, 0x104, v24
	s_and_not1_b32 exec_lo, exec_lo, s46
	s_cbranch_execz .LBB5_65
.LBB5_69:                               ;   Parent Loop BB5_11 Depth=1
                                        ;     Parent Loop BB5_52 Depth=2
                                        ;       Parent Loop BB5_66 Depth=3
                                        ; =>      This Inner Loop Header: Depth=4
	s_and_b32 vcc_lo, exec_lo, s31
	s_cbranch_vccz .LBB5_71
; %bb.70:                               ;   in Loop: Header=BB5_69 Depth=4
	v_add_nc_u32_e32 v26, s44, v25
	s_delay_alu instid0(VALU_DEP_1)
	v_mad_u64_u32 v[8:9], null, v26, s28, v[7:8]
	s_cbranch_execnz .LBB5_68
	s_branch .LBB5_72
	.p2align	6
.LBB5_71:                               ;   in Loop: Header=BB5_69 Depth=4
                                        ; implicit-def: $vgpr8
.LBB5_72:                               ;   in Loop: Header=BB5_69 Depth=4
	v_add_nc_u32_e32 v8, v23, v25
	s_branch .LBB5_68
.LBB5_73:                               ;   in Loop: Header=BB5_52 Depth=2
	s_set_inst_prefetch_distance 0x2
	s_or_b32 exec_lo, exec_lo, s37
	s_waitcnt lgkmcnt(0)
	v_mul_lo_u32 v21, v21, s28
	v_dual_mov_b32 v22, v14 :: v_dual_mov_b32 v7, v3
	s_mov_b32 s37, 0
	buffer_gl0_inv
	s_branch .LBB5_75
.LBB5_74:                               ;   in Loop: Header=BB5_75 Depth=3
	s_or_b32 exec_lo, exec_lo, s44
	v_add_nc_u32_e32 v7, 64, v7
	v_add_nc_u32_e32 v22, s42, v22
	s_delay_alu instid0(VALU_DEP_2) | instskip(SKIP_1) | instid1(SALU_CYCLE_1)
	v_cmp_le_i32_e32 vcc_lo, s28, v7
	s_or_b32 s37, vcc_lo, s37
	s_and_not1_b32 exec_lo, exec_lo, s37
	s_cbranch_execz .LBB5_49
.LBB5_75:                               ;   Parent Loop BB5_11 Depth=1
                                        ;     Parent Loop BB5_52 Depth=2
                                        ; =>    This Loop Header: Depth=3
                                        ;         Child Loop BB5_78 Depth 4
                                        ;           Child Loop BB5_80 Depth 5
	s_and_saveexec_b32 s44, s2
	s_cbranch_execz .LBB5_74
; %bb.76:                               ;   in Loop: Header=BB5_75 Depth=3
	v_dual_mov_b32 v25, v12 :: v_dual_add_nc_u32 v8, v7, v21
	v_mov_b32_e32 v24, v15
	s_mov_b32 s45, 0
	s_delay_alu instid0(VALU_DEP_2)
	v_mul_lo_u32 v23, v8, s28
	s_branch .LBB5_78
.LBB5_77:                               ;   in Loop: Header=BB5_78 Depth=4
	s_delay_alu instid0(VALU_DEP_1) | instskip(SKIP_1) | instid1(VALU_DEP_2)
	v_ashrrev_i32_e32 v9, 31, v8
	v_add_nc_u32_e32 v24, 0x104, v24
	v_lshlrev_b64 v[8:9], 2, v[8:9]
	s_delay_alu instid0(VALU_DEP_1) | instskip(NEXT) | instid1(VALU_DEP_2)
	v_add_co_u32 v8, vcc_lo, s12, v8
	v_add_co_ci_u32_e32 v9, vcc_lo, s13, v9, vcc_lo
	global_load_b32 v27, v[8:9], off
	s_waitcnt vmcnt(0)
	v_dual_sub_f32 v26, v27, v26 :: v_dual_add_nc_u32 v25, 1, v25
	s_delay_alu instid0(VALU_DEP_1) | instskip(SKIP_2) | instid1(SALU_CYCLE_1)
	v_cmp_le_i32_e32 vcc_lo, s28, v25
	global_store_b32 v[8:9], v26, off
	s_or_b32 s45, vcc_lo, s45
	s_and_not1_b32 exec_lo, exec_lo, s45
	s_cbranch_execz .LBB5_74
.LBB5_78:                               ;   Parent Loop BB5_11 Depth=1
                                        ;     Parent Loop BB5_52 Depth=2
                                        ;       Parent Loop BB5_75 Depth=3
                                        ; =>      This Loop Header: Depth=4
                                        ;           Child Loop BB5_80 Depth 5
	s_delay_alu instid0(VALU_DEP_2)
	v_dual_mov_b32 v26, 0 :: v_dual_mov_b32 v27, v24
	s_mov_b32 s46, 0
	s_set_inst_prefetch_distance 0x1
	s_branch .LBB5_80
	.p2align	6
.LBB5_79:                               ;   in Loop: Header=BB5_80 Depth=5
	s_delay_alu instid0(VALU_DEP_1) | instskip(SKIP_1) | instid1(SALU_CYCLE_1)
	v_ashrrev_i32_e32 v9, 31, v8
	s_add_i32 s46, s46, 1
	s_cmp_eq_u32 s28, s46
	s_delay_alu instid0(VALU_DEP_1) | instskip(NEXT) | instid1(VALU_DEP_1)
	v_lshlrev_b64 v[8:9], 2, v[8:9]
	v_add_co_u32 v8, vcc_lo, s12, v8
	s_delay_alu instid0(VALU_DEP_2)
	v_add_co_ci_u32_e32 v9, vcc_lo, s13, v9, vcc_lo
	global_load_b32 v8, v[8:9], off
	ds_load_b32 v9, v27
	s_waitcnt vmcnt(0) lgkmcnt(0)
	v_dual_fmac_f32 v26, v8, v9 :: v_dual_add_nc_u32 v27, 4, v27
	s_cbranch_scc1 .LBB5_84
.LBB5_80:                               ;   Parent Loop BB5_11 Depth=1
                                        ;     Parent Loop BB5_52 Depth=2
                                        ;       Parent Loop BB5_75 Depth=3
                                        ;         Parent Loop BB5_78 Depth=4
                                        ; =>        This Inner Loop Header: Depth=5
	s_and_b32 vcc_lo, exec_lo, s31
	s_cbranch_vccz .LBB5_82
; %bb.81:                               ;   in Loop: Header=BB5_80 Depth=5
	s_add_i32 s47, s46, s25
	s_delay_alu instid0(SALU_CYCLE_1)
	v_mad_u64_u32 v[8:9], null, s47, s28, v[7:8]
	s_cbranch_execnz .LBB5_79
	s_branch .LBB5_83
	.p2align	6
.LBB5_82:                               ;   in Loop: Header=BB5_80 Depth=5
                                        ; implicit-def: $vgpr8
.LBB5_83:                               ;   in Loop: Header=BB5_80 Depth=5
	v_add_nc_u32_e32 v8, s46, v22
	s_branch .LBB5_79
.LBB5_84:                               ;   in Loop: Header=BB5_78 Depth=4
	s_set_inst_prefetch_distance 0x2
	s_and_b32 vcc_lo, exec_lo, s31
	s_cbranch_vccz .LBB5_86
; %bb.85:                               ;   in Loop: Header=BB5_78 Depth=4
	v_add_nc_u32_e32 v27, v25, v21
	s_delay_alu instid0(VALU_DEP_1)
	v_mad_u64_u32 v[8:9], null, v27, s28, v[7:8]
	s_cbranch_execnz .LBB5_77
	s_branch .LBB5_87
.LBB5_86:                               ;   in Loop: Header=BB5_78 Depth=4
                                        ; implicit-def: $vgpr8
.LBB5_87:                               ;   in Loop: Header=BB5_78 Depth=4
	v_add_nc_u32_e32 v8, v25, v23
	s_branch .LBB5_77
.LBB5_88:                               ;   in Loop: Header=BB5_11 Depth=1
	s_mov_b32 s25, s38
.LBB5_89:                               ;   in Loop: Header=BB5_11 Depth=1
	s_add_i32 s36, s36, 1
	v_add_nc_u32_e32 v17, s43, v17
	s_cmp_lt_i32 s36, s30
	v_add_nc_u32_e32 v14, s43, v14
	s_cselect_b32 s6, -1, 0
	s_delay_alu instid0(SALU_CYCLE_1) | instskip(NEXT) | instid1(SALU_CYCLE_1)
	s_and_b32 s5, s5, s6
	s_and_b32 vcc_lo, exec_lo, s5
	s_cbranch_vccz .LBB5_91
; %bb.90:                               ;   in Loop: Header=BB5_11 Depth=1
	s_mov_b32 s38, s25
	s_branch .LBB5_11
.LBB5_91:
	s_ashr_i32 s31, s30, 31
	v_mov_b32_e32 v3, 0
	s_lshl_b64 s[0:1], s[30:31], 2
	s_waitcnt vmcnt(0) lgkmcnt(0)
	s_waitcnt_vscnt null, 0x0
	buffer_gl0_inv
	s_add_u32 s0, s10, s0
	s_addc_u32 s1, s11, s1
	global_load_b32 v3, v3, s[0:1]
	s_waitcnt vmcnt(0)
	v_subrev_nc_u32_e32 v3, s24, v3
	s_delay_alu instid0(VALU_DEP_1)
	v_cmp_ne_u32_e32 vcc_lo, s22, v3
	s_cbranch_vccnz .LBB5_136
; %bb.92:
	v_and_b32_e32 v3, 0x3ff, v0
	s_delay_alu instid0(VALU_DEP_1) | instskip(SKIP_1) | instid1(VALU_DEP_2)
	v_cmp_gt_i32_e64 s0, s28, v3
	v_lshlrev_b32_e32 v7, 2, v3
	s_and_saveexec_b32 s2, s0
	s_cbranch_execz .LBB5_103
; %bb.93:
	s_mul_i32 s3, s30, s28
	v_bfe_u32 v8, v0, 10, 10
	v_add_nc_u32_e32 v4, s3, v3
	v_lshlrev_b32_e32 v5, 2, v3
	s_cmp_lg_u32 s34, 0
	s_mov_b32 s4, 0
	v_cmp_gt_u32_e64 s1, s28, v8
	v_mul_lo_u32 v9, s28, v4
	v_mov_b32_e32 v4, v3
	v_mad_u32_u24 v12, 0x104, v8, v5
	s_cselect_b32 s5, -1, 0
	s_lshl_b32 s6, s28, 6
	s_set_inst_prefetch_distance 0x1
	s_branch .LBB5_95
	.p2align	6
.LBB5_94:                               ;   in Loop: Header=BB5_95 Depth=1
	s_or_b32 exec_lo, exec_lo, s7
	v_add_nc_u32_e32 v4, 64, v4
	v_add_nc_u32_e32 v9, s6, v9
	;; [unrolled: 1-line block ×3, first 2 shown]
	s_delay_alu instid0(VALU_DEP_3) | instskip(SKIP_1) | instid1(SALU_CYCLE_1)
	v_cmp_le_i32_e32 vcc_lo, s28, v4
	s_or_b32 s4, vcc_lo, s4
	s_and_not1_b32 exec_lo, exec_lo, s4
	s_cbranch_execz .LBB5_103
.LBB5_95:                               ; =>This Loop Header: Depth=1
                                        ;     Child Loop BB5_98 Depth 2
	s_and_saveexec_b32 s7, s1
	s_cbranch_execz .LBB5_94
; %bb.96:                               ;   in Loop: Header=BB5_95 Depth=1
	v_mov_b32_e32 v13, v12
	v_mov_b32_e32 v14, v8
	s_mov_b32 s8, 0
	s_branch .LBB5_98
	.p2align	6
.LBB5_97:                               ;   in Loop: Header=BB5_98 Depth=2
	s_delay_alu instid0(VALU_DEP_1) | instskip(SKIP_1) | instid1(VALU_DEP_2)
	v_ashrrev_i32_e32 v6, 31, v5
	v_add_nc_u32_e32 v14, 1, v14
	v_lshlrev_b64 v[5:6], 2, v[5:6]
	s_delay_alu instid0(VALU_DEP_1) | instskip(NEXT) | instid1(VALU_DEP_2)
	v_add_co_u32 v5, vcc_lo, s12, v5
	v_add_co_ci_u32_e32 v6, vcc_lo, s13, v6, vcc_lo
	s_delay_alu instid0(VALU_DEP_4)
	v_cmp_le_i32_e32 vcc_lo, s28, v14
	global_load_b32 v5, v[5:6], off
	s_or_b32 s8, vcc_lo, s8
	s_waitcnt vmcnt(0)
	ds_store_b32 v13, v5
	v_add_nc_u32_e32 v13, 0x104, v13
	s_and_not1_b32 exec_lo, exec_lo, s8
	s_cbranch_execz .LBB5_94
.LBB5_98:                               ;   Parent Loop BB5_95 Depth=1
                                        ; =>  This Inner Loop Header: Depth=2
	s_and_b32 vcc_lo, exec_lo, s5
	s_cbranch_vccz .LBB5_100
; %bb.99:                               ;   in Loop: Header=BB5_98 Depth=2
	v_add_nc_u32_e32 v15, s3, v14
	s_delay_alu instid0(VALU_DEP_1)
	v_mad_u64_u32 v[5:6], null, v15, s28, v[4:5]
	s_cbranch_execnz .LBB5_97
	s_branch .LBB5_101
	.p2align	6
.LBB5_100:                              ;   in Loop: Header=BB5_98 Depth=2
                                        ; implicit-def: $vgpr5
.LBB5_101:                              ;   in Loop: Header=BB5_98 Depth=2
	v_add_nc_u32_e32 v5, v9, v14
	s_branch .LBB5_97
.LBB5_102:
	s_mov_b32 s25, -1
	s_branch .LBB5_171
.LBB5_103:
	s_set_inst_prefetch_distance 0x2
	s_or_b32 exec_lo, exec_lo, s2
	s_cmp_lt_i32 s28, 1
	s_waitcnt lgkmcnt(0)
	buffer_gl0_inv
	s_cbranch_scc1 .LBB5_125
; %bb.104:
	v_cvt_f64_f32_e32 v[5:6], v11
	v_bfe_u32 v8, v0, 10, 10
	s_cmp_eq_u64 s[16:17], 8
	s_mov_b32 s4, 0
	s_cselect_b32 vcc_lo, -1, 0
	s_delay_alu instid0(VALU_DEP_1) | instskip(SKIP_2) | instid1(VALU_DEP_3)
	v_or_b32_e32 v9, v3, v8
	v_cmp_eq_u32_e64 s1, 0, v8
	v_mad_u32_u24 v4, 0x104, v8, 0x104
	v_cmp_eq_u32_e64 s2, 0, v9
	v_dual_cndmask_b32 v2, v6, v2 :: v_dual_cndmask_b32 v1, v5, v1
.LBB5_105:                              ; =>This Loop Header: Depth=1
                                        ;     Child Loop BB5_117 Depth 2
                                        ;       Child Loop BB5_121 Depth 3
	s_lshl_b32 s3, s4, 2
	s_mul_i32 s5, s4, 0x104
	s_and_not1_b32 vcc_lo, exec_lo, s29
	s_add_i32 s3, s5, s3
	s_waitcnt lgkmcnt(0)
	v_mov_b32_e32 v5, s3
	ds_load_b32 v5, v5
	s_cbranch_vccnz .LBB5_109
; %bb.106:                              ;   in Loop: Header=BB5_105 Depth=1
	s_waitcnt lgkmcnt(0)
	v_cmp_gt_f32_e32 vcc_lo, 0, v5
	buffer_gl0_inv
	v_cndmask_b32_e64 v6, v5, -v5, vcc_lo
	s_delay_alu instid0(VALU_DEP_1) | instskip(NEXT) | instid1(VALU_DEP_1)
	v_cvt_f64_f32_e32 v[11:12], v6
	v_cmp_ge_f64_e32 vcc_lo, v[1:2], v[11:12]
	v_cndmask_b32_e32 v9, v5, v10, vcc_lo
	s_and_saveexec_b32 s6, s2
	s_cbranch_execz .LBB5_108
; %bb.107:                              ;   in Loop: Header=BB5_105 Depth=1
	v_mov_b32_e32 v6, s3
	ds_store_b32 v6, v9
.LBB5_108:                              ;   in Loop: Header=BB5_105 Depth=1
	s_or_b32 exec_lo, exec_lo, s6
	s_mov_b32 s3, -1
	s_mov_b32 s7, 0
	s_cbranch_execz .LBB5_110
	s_branch .LBB5_111
.LBB5_109:                              ;   in Loop: Header=BB5_105 Depth=1
	s_mov_b32 s3, 0
                                        ; implicit-def: $vgpr9
	s_mov_b32 s7, 0
.LBB5_110:                              ;   in Loop: Header=BB5_105 Depth=1
	s_waitcnt lgkmcnt(0)
	v_cmp_neq_f32_e64 s3, 0, v5
	v_mov_b32_e32 v9, v5
	s_mov_b32 s7, -1
.LBB5_111:                              ;   in Loop: Header=BB5_105 Depth=1
	s_delay_alu instid0(VALU_DEP_2)
	s_and_not1_b32 vcc_lo, exec_lo, s3
                                        ; implicit-def: $sgpr6
	s_cbranch_vccz .LBB5_114
; %bb.112:                              ;   in Loop: Header=BB5_105 Depth=1
	s_and_not1_b32 vcc_lo, exec_lo, s7
	s_cbranch_vccz .LBB5_123
.LBB5_113:                              ;   in Loop: Header=BB5_105 Depth=1
	s_cmp_eq_u32 s6, s28
	s_cbranch_scc0 .LBB5_124
	s_branch .LBB5_125
.LBB5_114:                              ;   in Loop: Header=BB5_105 Depth=1
	s_add_i32 s6, s4, 1
	s_mov_b32 s7, exec_lo
	v_add_nc_u32_e32 v11, s6, v3
	s_delay_alu instid0(VALU_DEP_1)
	v_cmpx_gt_i32_e64 s28, v11
	s_cbranch_execz .LBB5_122
; %bb.115:                              ;   in Loop: Header=BB5_105 Depth=1
	v_add_nc_u32_e32 v12, s6, v8
	s_waitcnt lgkmcnt(0)
	v_mad_u64_u32 v[5:6], null, 0x108, s4, v[4:5]
	v_mov_b32_e32 v6, v7
	s_mov_b32 s8, 0
	v_cmp_gt_i32_e64 s3, s28, v12
	s_branch .LBB5_117
.LBB5_116:                              ;   in Loop: Header=BB5_117 Depth=2
	s_or_b32 exec_lo, exec_lo, s9
	v_add_nc_u32_e32 v11, 64, v11
	v_add_nc_u32_e32 v6, 0x100, v6
	s_delay_alu instid0(VALU_DEP_2) | instskip(SKIP_1) | instid1(SALU_CYCLE_1)
	v_cmp_le_i32_e32 vcc_lo, s28, v11
	s_or_b32 s8, vcc_lo, s8
	s_and_not1_b32 exec_lo, exec_lo, s8
	s_cbranch_execz .LBB5_122
.LBB5_117:                              ;   Parent Loop BB5_105 Depth=1
                                        ; =>  This Loop Header: Depth=2
                                        ;       Child Loop BB5_121 Depth 3
	v_lshl_add_u32 v14, v11, 2, s5
	ds_load_b32 v13, v14
	s_waitcnt lgkmcnt(0)
	buffer_gl0_inv
	v_div_scale_f32 v15, null, v9, v9, v13
	s_delay_alu instid0(VALU_DEP_1) | instskip(SKIP_2) | instid1(VALU_DEP_1)
	v_rcp_f32_e32 v16, v15
	s_waitcnt_depctr 0xfff
	v_fma_f32 v17, -v15, v16, 1.0
	v_fmac_f32_e32 v16, v17, v16
	v_div_scale_f32 v17, vcc_lo, v13, v9, v13
	s_delay_alu instid0(VALU_DEP_1) | instskip(NEXT) | instid1(VALU_DEP_1)
	v_mul_f32_e32 v18, v17, v16
	v_fma_f32 v19, -v15, v18, v17
	s_delay_alu instid0(VALU_DEP_1) | instskip(NEXT) | instid1(VALU_DEP_1)
	v_fmac_f32_e32 v18, v19, v16
	v_fma_f32 v15, -v15, v18, v17
	s_delay_alu instid0(VALU_DEP_1) | instskip(NEXT) | instid1(VALU_DEP_1)
	v_div_fmas_f32 v15, v15, v16, v18
	v_div_fixup_f32 v13, v15, v9, v13
	s_and_saveexec_b32 s9, s1
	s_cbranch_execz .LBB5_119
; %bb.118:                              ;   in Loop: Header=BB5_117 Depth=2
	ds_store_b32 v14, v13
.LBB5_119:                              ;   in Loop: Header=BB5_117 Depth=2
	s_or_b32 exec_lo, exec_lo, s9
	s_and_saveexec_b32 s9, s3
	s_cbranch_execz .LBB5_116
; %bb.120:                              ;   in Loop: Header=BB5_117 Depth=2
	v_dual_mov_b32 v14, v5 :: v_dual_mov_b32 v15, v12
	s_mov_b32 s10, 0
	.p2align	6
.LBB5_121:                              ;   Parent Loop BB5_105 Depth=1
                                        ;     Parent Loop BB5_117 Depth=2
                                        ; =>    This Inner Loop Header: Depth=3
	s_delay_alu instid0(VALU_DEP_1) | instskip(NEXT) | instid1(VALU_DEP_2)
	v_add_nc_u32_e32 v16, v14, v6
	v_add_nc_u32_e32 v15, 1, v15
	ds_load_b32 v17, v14
	ds_load_b32 v18, v16 offset:4
	v_add_nc_u32_e32 v14, 0x104, v14
	v_cmp_le_i32_e32 vcc_lo, s28, v15
	s_or_b32 s10, vcc_lo, s10
	s_waitcnt lgkmcnt(0)
	v_fma_f32 v17, -v13, v17, v18
	ds_store_b32 v16, v17 offset:4
	s_and_not1_b32 exec_lo, exec_lo, s10
	s_cbranch_execnz .LBB5_121
	s_branch .LBB5_116
.LBB5_122:                              ;   in Loop: Header=BB5_105 Depth=1
	s_or_b32 exec_lo, exec_lo, s7
	s_cbranch_execnz .LBB5_113
.LBB5_123:                              ;   in Loop: Header=BB5_105 Depth=1
	s_add_i32 s6, s4, 1
	s_mov_b32 s25, -1
	s_cmp_eq_u32 s6, s28
	s_cbranch_scc1 .LBB5_125
.LBB5_124:                              ;   in Loop: Header=BB5_105 Depth=1
	s_mov_b32 s4, s6
	s_branch .LBB5_105
.LBB5_125:
	s_waitcnt lgkmcnt(0)
	buffer_gl0_inv
	s_and_saveexec_b32 s2, s0
	s_cbranch_execz .LBB5_135
; %bb.126:
	s_mul_i32 s3, s30, s28
	v_bfe_u32 v4, v0, 10, 10
	v_add_nc_u32_e32 v1, s3, v3
	s_cmp_lg_u32 s34, 0
	s_mov_b32 s4, 0
	s_cselect_b32 s5, -1, 0
	v_cmp_gt_u32_e64 s0, s28, v4
	v_mul_lo_u32 v5, s28, v1
	v_mad_u32_u24 v6, 0x104, v4, v7
	s_lshl_b32 s6, s28, 6
	s_set_inst_prefetch_distance 0x1
	s_branch .LBB5_128
	.p2align	6
.LBB5_127:                              ;   in Loop: Header=BB5_128 Depth=1
	s_or_b32 exec_lo, exec_lo, s7
	v_add_nc_u32_e32 v3, 64, v3
	v_add_nc_u32_e32 v5, s6, v5
	;; [unrolled: 1-line block ×3, first 2 shown]
	s_delay_alu instid0(VALU_DEP_3) | instskip(SKIP_1) | instid1(SALU_CYCLE_1)
	v_cmp_le_i32_e32 vcc_lo, s28, v3
	s_or_b32 s4, vcc_lo, s4
	s_and_not1_b32 exec_lo, exec_lo, s4
	s_cbranch_execz .LBB5_135
.LBB5_128:                              ; =>This Loop Header: Depth=1
                                        ;     Child Loop BB5_131 Depth 2
	s_and_saveexec_b32 s7, s0
	s_cbranch_execz .LBB5_127
; %bb.129:                              ;   in Loop: Header=BB5_128 Depth=1
	v_dual_mov_b32 v7, v6 :: v_dual_mov_b32 v8, v4
	s_mov_b32 s8, 0
	s_branch .LBB5_131
	.p2align	6
.LBB5_130:                              ;   in Loop: Header=BB5_131 Depth=2
	s_delay_alu instid0(VALU_DEP_1) | instskip(SKIP_2) | instid1(VALU_DEP_3)
	v_ashrrev_i32_e32 v2, 31, v1
	v_add_nc_u32_e32 v8, 1, v8
	v_add_nc_u32_e32 v7, 0x104, v7
	v_lshlrev_b64 v[1:2], 2, v[1:2]
	s_delay_alu instid0(VALU_DEP_3) | instskip(SKIP_1) | instid1(VALU_DEP_2)
	v_cmp_le_i32_e32 vcc_lo, s28, v8
	s_or_b32 s8, vcc_lo, s8
	v_add_co_u32 v1, s1, s12, v1
	s_delay_alu instid0(VALU_DEP_1)
	v_add_co_ci_u32_e64 v2, s1, s13, v2, s1
	s_waitcnt lgkmcnt(0)
	global_store_b32 v[1:2], v9, off
	s_and_not1_b32 exec_lo, exec_lo, s8
	s_cbranch_execz .LBB5_127
.LBB5_131:                              ;   Parent Loop BB5_128 Depth=1
                                        ; =>  This Inner Loop Header: Depth=2
	ds_load_b32 v9, v7
	s_and_b32 vcc_lo, exec_lo, s5
	s_cbranch_vccz .LBB5_133
; %bb.132:                              ;   in Loop: Header=BB5_131 Depth=2
	v_add_nc_u32_e32 v10, s3, v8
	s_delay_alu instid0(VALU_DEP_1)
	v_mad_u64_u32 v[1:2], null, v10, s28, v[3:4]
	s_cbranch_execnz .LBB5_130
	s_branch .LBB5_134
	.p2align	6
.LBB5_133:                              ;   in Loop: Header=BB5_131 Depth=2
                                        ; implicit-def: $vgpr1
.LBB5_134:                              ;   in Loop: Header=BB5_131 Depth=2
	v_add_nc_u32_e32 v1, v5, v8
	s_branch .LBB5_130
.LBB5_135:
	s_set_inst_prefetch_distance 0x2
	s_or_b32 exec_lo, exec_lo, s2
.LBB5_136:
	s_add_i32 s3, s30, 1
	s_delay_alu instid0(SALU_CYCLE_1)
	s_cmp_ge_i32 s3, s23
	s_cbranch_scc1 .LBB5_171
; %bb.137:
	v_and_b32_e32 v1, 0x3ff, v0
	v_bfe_u32 v6, v0, 10, 10
	s_mul_i32 s5, s30, s28
	s_cmp_lg_u32 s34, 0
	s_mul_i32 s7, s28, s28
	v_mad_u64_u32 v[2:3], null, s28, s3, v[1:2]
	v_lshlrev_b32_e32 v3, 2, v1
	v_add_nc_u32_e32 v4, s5, v6
	v_mul_u32_u24_e32 v5, 0x104, v1
	v_lshlrev_b32_e32 v10, 2, v6
	s_cselect_b32 s4, -1, 0
	s_cmp_gt_i32 s28, 0
	v_cmp_gt_i32_e64 s0, s28, v1
	v_cmp_gt_i32_e64 s1, s28, v6
	v_add_nc_u32_e32 v7, 1, v6
	v_mul_lo_u32 v8, s28, v2
	v_mad_u32_u24 v9, 0x104, v6, v3
	v_mad_u64_u32 v[2:3], null, s28, v4, s[28:29]
	v_add3_u32 v10, v5, v10, 4
	s_cselect_b32 s6, -1, 0
	s_lshl_b32 s8, s28, 6
	s_add_i32 s9, s28, 1
.LBB5_138:                              ; =>This Loop Header: Depth=1
                                        ;     Child Loop BB5_141 Depth 2
                                        ;       Child Loop BB5_144 Depth 3
                                        ;     Child Loop BB5_151 Depth 2
                                        ;       Child Loop BB5_154 Depth 3
                                        ;         Child Loop BB5_157 Depth 4
                                        ;     Child Loop BB5_162 Depth 2
                                        ;       Child Loop BB5_165 Depth 3
	s_mul_i32 s10, s3, s28
	s_waitcnt_vscnt null, 0x0
	buffer_gl0_inv
	s_and_saveexec_b32 s2, s0
	s_cbranch_execz .LBB5_148
; %bb.139:                              ;   in Loop: Header=BB5_138 Depth=1
	v_dual_mov_b32 v11, v9 :: v_dual_mov_b32 v12, v8
	v_mov_b32_e32 v3, v1
	s_mov_b32 s11, 0
	s_set_inst_prefetch_distance 0x1
	s_branch .LBB5_141
	.p2align	6
.LBB5_140:                              ;   in Loop: Header=BB5_141 Depth=2
	s_or_b32 exec_lo, exec_lo, s14
	v_add_nc_u32_e32 v3, 64, v3
	v_add_nc_u32_e32 v12, s8, v12
	;; [unrolled: 1-line block ×3, first 2 shown]
	s_delay_alu instid0(VALU_DEP_3) | instskip(SKIP_1) | instid1(SALU_CYCLE_1)
	v_cmp_le_i32_e32 vcc_lo, s28, v3
	s_or_b32 s11, vcc_lo, s11
	s_and_not1_b32 exec_lo, exec_lo, s11
	s_cbranch_execz .LBB5_148
.LBB5_141:                              ;   Parent Loop BB5_138 Depth=1
                                        ; =>  This Loop Header: Depth=2
                                        ;       Child Loop BB5_144 Depth 3
	s_and_saveexec_b32 s14, s1
	s_cbranch_execz .LBB5_140
; %bb.142:                              ;   in Loop: Header=BB5_141 Depth=2
	v_dual_mov_b32 v13, v11 :: v_dual_mov_b32 v14, v6
	s_mov_b32 s15, 0
	s_branch .LBB5_144
	.p2align	6
.LBB5_143:                              ;   in Loop: Header=BB5_144 Depth=3
	s_delay_alu instid0(VALU_DEP_1) | instskip(SKIP_1) | instid1(VALU_DEP_2)
	v_ashrrev_i32_e32 v5, 31, v4
	v_add_nc_u32_e32 v14, 1, v14
	v_lshlrev_b64 v[4:5], 2, v[4:5]
	s_delay_alu instid0(VALU_DEP_1) | instskip(NEXT) | instid1(VALU_DEP_2)
	v_add_co_u32 v4, vcc_lo, s12, v4
	v_add_co_ci_u32_e32 v5, vcc_lo, s13, v5, vcc_lo
	s_delay_alu instid0(VALU_DEP_4)
	v_cmp_le_i32_e32 vcc_lo, s28, v14
	global_load_b32 v4, v[4:5], off
	s_or_b32 s15, vcc_lo, s15
	s_waitcnt vmcnt(0)
	ds_store_b32 v13, v4
	v_add_nc_u32_e32 v13, 0x104, v13
	s_and_not1_b32 exec_lo, exec_lo, s15
	s_cbranch_execz .LBB5_140
.LBB5_144:                              ;   Parent Loop BB5_138 Depth=1
                                        ;     Parent Loop BB5_141 Depth=2
                                        ; =>    This Inner Loop Header: Depth=3
	s_and_b32 vcc_lo, exec_lo, s4
	s_cbranch_vccz .LBB5_146
; %bb.145:                              ;   in Loop: Header=BB5_144 Depth=3
	v_add_nc_u32_e32 v15, s10, v14
	s_delay_alu instid0(VALU_DEP_1)
	v_mad_u64_u32 v[4:5], null, v15, s28, v[3:4]
	s_cbranch_execnz .LBB5_143
	s_branch .LBB5_147
	.p2align	6
.LBB5_146:                              ;   in Loop: Header=BB5_144 Depth=3
                                        ; implicit-def: $vgpr4
.LBB5_147:                              ;   in Loop: Header=BB5_144 Depth=3
	v_add_nc_u32_e32 v4, v12, v14
	s_branch .LBB5_143
.LBB5_148:                              ;   in Loop: Header=BB5_138 Depth=1
	s_set_inst_prefetch_distance 0x2
	s_or_b32 exec_lo, exec_lo, s2
	s_delay_alu instid0(SALU_CYCLE_1)
	s_and_not1_b32 vcc_lo, exec_lo, s6
	s_waitcnt lgkmcnt(0)
	buffer_gl0_inv
	s_cbranch_vccnz .LBB5_159
; %bb.149:                              ;   in Loop: Header=BB5_138 Depth=1
	v_mov_b32_e32 v5, v10
	v_mov_b32_e32 v11, v2
	s_mov_b32 s11, 0
	s_branch .LBB5_151
.LBB5_150:                              ;   in Loop: Header=BB5_151 Depth=2
	s_set_inst_prefetch_distance 0x2
	s_or_b32 exec_lo, exec_lo, s14
	v_add_nc_u32_e32 v11, s9, v11
	v_add_nc_u32_e32 v5, 4, v5
	s_add_i32 s11, s11, 1
	s_delay_alu instid0(SALU_CYCLE_1)
	s_cmp_eq_u32 s11, s28
	s_cbranch_scc1 .LBB5_159
.LBB5_151:                              ;   Parent Loop BB5_138 Depth=1
                                        ; =>  This Loop Header: Depth=2
                                        ;       Child Loop BB5_154 Depth 3
                                        ;         Child Loop BB5_157 Depth 4
	s_and_saveexec_b32 s14, s0
	s_cbranch_execz .LBB5_150
; %bb.152:                              ;   in Loop: Header=BB5_151 Depth=2
	v_dual_mov_b32 v13, v5 :: v_dual_add_nc_u32 v12, s11, v7
	v_mov_b32_e32 v14, v1
	s_add_i32 s15, s11, s5
	s_mov_b32 s16, 0
	s_delay_alu instid0(VALU_DEP_2)
	v_cmp_gt_i32_e64 s2, s28, v12
	s_mul_i32 s15, s15, s28
	s_set_inst_prefetch_distance 0x1
	s_branch .LBB5_154
	.p2align	6
.LBB5_153:                              ;   in Loop: Header=BB5_154 Depth=3
	s_or_b32 exec_lo, exec_lo, s17
	v_add_nc_u32_e32 v14, 64, v14
	v_add_nc_u32_e32 v13, 0x4100, v13
	s_delay_alu instid0(VALU_DEP_2) | instskip(SKIP_1) | instid1(SALU_CYCLE_1)
	v_cmp_le_i32_e32 vcc_lo, s28, v14
	s_or_b32 s16, vcc_lo, s16
	s_and_not1_b32 exec_lo, exec_lo, s16
	s_cbranch_execz .LBB5_150
.LBB5_154:                              ;   Parent Loop BB5_138 Depth=1
                                        ;     Parent Loop BB5_151 Depth=2
                                        ; =>    This Loop Header: Depth=3
                                        ;         Child Loop BB5_157 Depth 4
	s_delay_alu instid0(VALU_DEP_1)
	s_and_saveexec_b32 s17, s2
	s_cbranch_execz .LBB5_153
; %bb.155:                              ;   in Loop: Header=BB5_154 Depth=3
	v_mul_lo_u32 v3, 0x104, v14
	v_dual_mov_b32 v15, v13 :: v_dual_mov_b32 v16, v11
	v_mov_b32_e32 v18, v12
	s_mov_b32 s29, 0
	s_delay_alu instid0(VALU_DEP_3)
	v_lshl_add_u32 v17, s11, 2, v3
	s_branch .LBB5_157
	.p2align	6
.LBB5_156:                              ;   in Loop: Header=BB5_157 Depth=4
	s_delay_alu instid0(VALU_DEP_1) | instskip(SKIP_2) | instid1(VALU_DEP_3)
	v_ashrrev_i32_e32 v4, 31, v3
	v_add_nc_u32_e32 v18, 1, v18
	v_add_nc_u32_e32 v16, s28, v16
	v_lshlrev_b64 v[3:4], 2, v[3:4]
	s_delay_alu instid0(VALU_DEP_1) | instskip(NEXT) | instid1(VALU_DEP_2)
	v_add_co_u32 v3, vcc_lo, s12, v3
	v_add_co_ci_u32_e32 v4, vcc_lo, s13, v4, vcc_lo
	v_cmp_le_i32_e32 vcc_lo, s28, v18
	global_load_b32 v3, v[3:4], off
	ds_load_b32 v4, v17
	ds_load_b32 v19, v15
	s_or_b32 s29, vcc_lo, s29
	s_waitcnt vmcnt(0) lgkmcnt(0)
	v_fma_f32 v3, -v3, v4, v19
	ds_store_b32 v15, v3
	v_add_nc_u32_e32 v15, 4, v15
	s_and_not1_b32 exec_lo, exec_lo, s29
	s_cbranch_execz .LBB5_153
.LBB5_157:                              ;   Parent Loop BB5_138 Depth=1
                                        ;     Parent Loop BB5_151 Depth=2
                                        ;       Parent Loop BB5_154 Depth=3
                                        ; =>      This Inner Loop Header: Depth=4
	v_mov_b32_e32 v3, v16
	s_and_not1_b32 vcc_lo, exec_lo, s4
	s_cbranch_vccnz .LBB5_156
; %bb.158:                              ;   in Loop: Header=BB5_157 Depth=4
	v_add_nc_u32_e32 v3, s15, v18
	s_branch .LBB5_156
.LBB5_159:                              ;   in Loop: Header=BB5_138 Depth=1
	s_waitcnt lgkmcnt(0)
	buffer_gl0_inv
	s_and_saveexec_b32 s11, s0
	s_cbranch_execz .LBB5_169
; %bb.160:                              ;   in Loop: Header=BB5_138 Depth=1
	v_dual_mov_b32 v11, v9 :: v_dual_mov_b32 v12, v8
	v_mov_b32_e32 v3, v1
	s_mov_b32 s14, 0
	s_set_inst_prefetch_distance 0x1
	s_branch .LBB5_162
	.p2align	6
.LBB5_161:                              ;   in Loop: Header=BB5_162 Depth=2
	s_or_b32 exec_lo, exec_lo, s15
	v_add_nc_u32_e32 v3, 64, v3
	v_add_nc_u32_e32 v12, s8, v12
	;; [unrolled: 1-line block ×3, first 2 shown]
	s_delay_alu instid0(VALU_DEP_3) | instskip(SKIP_1) | instid1(SALU_CYCLE_1)
	v_cmp_le_i32_e32 vcc_lo, s28, v3
	s_or_b32 s14, vcc_lo, s14
	s_and_not1_b32 exec_lo, exec_lo, s14
	s_cbranch_execz .LBB5_169
.LBB5_162:                              ;   Parent Loop BB5_138 Depth=1
                                        ; =>  This Loop Header: Depth=2
                                        ;       Child Loop BB5_165 Depth 3
	s_and_saveexec_b32 s15, s1
	s_cbranch_execz .LBB5_161
; %bb.163:                              ;   in Loop: Header=BB5_162 Depth=2
	v_dual_mov_b32 v13, v11 :: v_dual_mov_b32 v14, v6
	s_mov_b32 s16, 0
	s_branch .LBB5_165
	.p2align	6
.LBB5_164:                              ;   in Loop: Header=BB5_165 Depth=3
	s_delay_alu instid0(VALU_DEP_1) | instskip(SKIP_2) | instid1(VALU_DEP_3)
	v_ashrrev_i32_e32 v5, 31, v4
	v_add_nc_u32_e32 v14, 1, v14
	v_add_nc_u32_e32 v13, 0x104, v13
	v_lshlrev_b64 v[4:5], 2, v[4:5]
	s_delay_alu instid0(VALU_DEP_3) | instskip(SKIP_1) | instid1(VALU_DEP_2)
	v_cmp_le_i32_e32 vcc_lo, s28, v14
	s_or_b32 s16, vcc_lo, s16
	v_add_co_u32 v4, s2, s12, v4
	s_delay_alu instid0(VALU_DEP_1)
	v_add_co_ci_u32_e64 v5, s2, s13, v5, s2
	s_waitcnt lgkmcnt(0)
	global_store_b32 v[4:5], v15, off
	s_and_not1_b32 exec_lo, exec_lo, s16
	s_cbranch_execz .LBB5_161
.LBB5_165:                              ;   Parent Loop BB5_138 Depth=1
                                        ;     Parent Loop BB5_162 Depth=2
                                        ; =>    This Inner Loop Header: Depth=3
	ds_load_b32 v15, v13
	s_and_b32 vcc_lo, exec_lo, s4
	s_cbranch_vccz .LBB5_167
; %bb.166:                              ;   in Loop: Header=BB5_165 Depth=3
	v_add_nc_u32_e32 v16, s10, v14
	s_delay_alu instid0(VALU_DEP_1)
	v_mad_u64_u32 v[4:5], null, v16, s28, v[3:4]
	s_cbranch_execnz .LBB5_164
	s_branch .LBB5_168
	.p2align	6
.LBB5_167:                              ;   in Loop: Header=BB5_165 Depth=3
                                        ; implicit-def: $vgpr4
.LBB5_168:                              ;   in Loop: Header=BB5_165 Depth=3
	v_add_nc_u32_e32 v4, v12, v14
	s_branch .LBB5_164
.LBB5_169:                              ;   in Loop: Header=BB5_138 Depth=1
	s_set_inst_prefetch_distance 0x2
	s_or_b32 exec_lo, exec_lo, s11
; %bb.170:                              ;   in Loop: Header=BB5_138 Depth=1
	v_add_nc_u32_e32 v8, s7, v8
	s_add_i32 s3, s3, 1
	s_delay_alu instid0(SALU_CYCLE_1)
	s_cmp_ge_i32 s3, s23
	s_cbranch_scc0 .LBB5_138
.LBB5_171:
	s_waitcnt vmcnt(0)
	v_and_b32_e32 v1, 0x3ff, v0
	v_bfe_u32 v0, v0, 10, 10
	s_mov_b32 s0, exec_lo
	s_delay_alu instid0(VALU_DEP_1) | instskip(NEXT) | instid1(VALU_DEP_1)
	v_or_b32_e32 v0, v1, v0
	v_cmpx_eq_u32_e32 0, v0
	s_cbranch_execz .LBB5_175
; %bb.172:
	v_dual_mov_b32 v0, 0 :: v_dual_mov_b32 v1, 1
	s_add_u32 s0, s20, s26
	s_addc_u32 s1, s21, s27
	s_and_not1_b32 vcc_lo, exec_lo, s25
	s_waitcnt_vscnt null, 0x0
	global_store_b32 v0, v1, s[0:1]
	s_cbranch_vccnz .LBB5_175
; %bb.173:
	v_mbcnt_lo_u32_b32 v0, exec_lo, 0
	s_delay_alu instid0(VALU_DEP_1)
	v_cmp_eq_u32_e32 vcc_lo, 0, v0
	s_and_b32 exec_lo, exec_lo, vcc_lo
	s_cbranch_execz .LBB5_175
; %bb.174:
	s_add_i32 s0, s22, s24
	s_delay_alu instid0(SALU_CYCLE_1)
	v_dual_mov_b32 v0, 0 :: v_dual_mov_b32 v1, s0
	global_atomic_min_i32 v0, v1, s[18:19]
.LBB5_175:
	s_nop 0
	s_sendmsg sendmsg(MSG_DEALLOC_VGPRS)
	s_endpgm
	.section	.rodata,"a",@progbits
	.p2align	6, 0x0
	.amdhsa_kernel _ZN9rocsparseL13bsrilu0_33_64ILj64ELj64ELj64EfEEv20rocsparse_direction_iPKiS3_PT2_S3_iPiS3_S6_21rocsparse_index_base_imNS_24const_host_device_scalarIfEENS8_IdEENS8_IS4_EEb
		.amdhsa_group_segment_fixed_size 16640
		.amdhsa_private_segment_fixed_size 0
		.amdhsa_kernarg_size 116
		.amdhsa_user_sgpr_count 15
		.amdhsa_user_sgpr_dispatch_ptr 0
		.amdhsa_user_sgpr_queue_ptr 0
		.amdhsa_user_sgpr_kernarg_segment_ptr 1
		.amdhsa_user_sgpr_dispatch_id 0
		.amdhsa_user_sgpr_private_segment_size 0
		.amdhsa_wavefront_size32 1
		.amdhsa_uses_dynamic_stack 0
		.amdhsa_enable_private_segment 0
		.amdhsa_system_sgpr_workgroup_id_x 1
		.amdhsa_system_sgpr_workgroup_id_y 0
		.amdhsa_system_sgpr_workgroup_id_z 0
		.amdhsa_system_sgpr_workgroup_info 0
		.amdhsa_system_vgpr_workitem_id 1
		.amdhsa_next_free_vgpr 32
		.amdhsa_next_free_sgpr 50
		.amdhsa_reserve_vcc 1
		.amdhsa_float_round_mode_32 0
		.amdhsa_float_round_mode_16_64 0
		.amdhsa_float_denorm_mode_32 3
		.amdhsa_float_denorm_mode_16_64 3
		.amdhsa_dx10_clamp 1
		.amdhsa_ieee_mode 1
		.amdhsa_fp16_overflow 0
		.amdhsa_workgroup_processor_mode 1
		.amdhsa_memory_ordered 1
		.amdhsa_forward_progress 0
		.amdhsa_shared_vgpr_count 0
		.amdhsa_exception_fp_ieee_invalid_op 0
		.amdhsa_exception_fp_denorm_src 0
		.amdhsa_exception_fp_ieee_div_zero 0
		.amdhsa_exception_fp_ieee_overflow 0
		.amdhsa_exception_fp_ieee_underflow 0
		.amdhsa_exception_fp_ieee_inexact 0
		.amdhsa_exception_int_div_zero 0
	.end_amdhsa_kernel
	.section	.text._ZN9rocsparseL13bsrilu0_33_64ILj64ELj64ELj64EfEEv20rocsparse_direction_iPKiS3_PT2_S3_iPiS3_S6_21rocsparse_index_base_imNS_24const_host_device_scalarIfEENS8_IdEENS8_IS4_EEb,"axG",@progbits,_ZN9rocsparseL13bsrilu0_33_64ILj64ELj64ELj64EfEEv20rocsparse_direction_iPKiS3_PT2_S3_iPiS3_S6_21rocsparse_index_base_imNS_24const_host_device_scalarIfEENS8_IdEENS8_IS4_EEb,comdat
.Lfunc_end5:
	.size	_ZN9rocsparseL13bsrilu0_33_64ILj64ELj64ELj64EfEEv20rocsparse_direction_iPKiS3_PT2_S3_iPiS3_S6_21rocsparse_index_base_imNS_24const_host_device_scalarIfEENS8_IdEENS8_IS4_EEb, .Lfunc_end5-_ZN9rocsparseL13bsrilu0_33_64ILj64ELj64ELj64EfEEv20rocsparse_direction_iPKiS3_PT2_S3_iPiS3_S6_21rocsparse_index_base_imNS_24const_host_device_scalarIfEENS8_IdEENS8_IS4_EEb
                                        ; -- End function
	.section	.AMDGPU.csdata,"",@progbits
; Kernel info:
; codeLenInByte = 5136
; NumSgprs: 52
; NumVgprs: 32
; ScratchSize: 0
; MemoryBound: 0
; FloatMode: 240
; IeeeMode: 1
; LDSByteSize: 16640 bytes/workgroup (compile time only)
; SGPRBlocks: 6
; VGPRBlocks: 3
; NumSGPRsForWavesPerEU: 52
; NumVGPRsForWavesPerEU: 32
; Occupancy: 4
; WaveLimiterHint : 1
; COMPUTE_PGM_RSRC2:SCRATCH_EN: 0
; COMPUTE_PGM_RSRC2:USER_SGPR: 15
; COMPUTE_PGM_RSRC2:TRAP_HANDLER: 0
; COMPUTE_PGM_RSRC2:TGID_X_EN: 1
; COMPUTE_PGM_RSRC2:TGID_Y_EN: 0
; COMPUTE_PGM_RSRC2:TGID_Z_EN: 0
; COMPUTE_PGM_RSRC2:TIDIG_COMP_CNT: 1
	.section	.text._ZN9rocsparseL15bsrilu0_generalILj128ELj64ELb0EfEEv20rocsparse_direction_iPKiS3_PT2_S3_iPiS3_S6_21rocsparse_index_base_imNS_24const_host_device_scalarIfEENS8_IdEENS8_IS4_EEb,"axG",@progbits,_ZN9rocsparseL15bsrilu0_generalILj128ELj64ELb0EfEEv20rocsparse_direction_iPKiS3_PT2_S3_iPiS3_S6_21rocsparse_index_base_imNS_24const_host_device_scalarIfEENS8_IdEENS8_IS4_EEb,comdat
	.globl	_ZN9rocsparseL15bsrilu0_generalILj128ELj64ELb0EfEEv20rocsparse_direction_iPKiS3_PT2_S3_iPiS3_S6_21rocsparse_index_base_imNS_24const_host_device_scalarIfEENS8_IdEENS8_IS4_EEb ; -- Begin function _ZN9rocsparseL15bsrilu0_generalILj128ELj64ELb0EfEEv20rocsparse_direction_iPKiS3_PT2_S3_iPiS3_S6_21rocsparse_index_base_imNS_24const_host_device_scalarIfEENS8_IdEENS8_IS4_EEb
	.p2align	8
	.type	_ZN9rocsparseL15bsrilu0_generalILj128ELj64ELb0EfEEv20rocsparse_direction_iPKiS3_PT2_S3_iPiS3_S6_21rocsparse_index_base_imNS_24const_host_device_scalarIfEENS8_IdEENS8_IS4_EEb,@function
_ZN9rocsparseL15bsrilu0_generalILj128ELj64ELb0EfEEv20rocsparse_direction_iPKiS3_PT2_S3_iPiS3_S6_21rocsparse_index_base_imNS_24const_host_device_scalarIfEENS8_IdEENS8_IS4_EEb: ; @_ZN9rocsparseL15bsrilu0_generalILj128ELj64ELb0EfEEv20rocsparse_direction_iPKiS3_PT2_S3_iPiS3_S6_21rocsparse_index_base_imNS_24const_host_device_scalarIfEENS8_IdEENS8_IS4_EEb
; %bb.0:
	s_clause 0x2
	s_load_b32 s2, s[0:1], 0x70
	s_load_b64 s[24:25], s[0:1], 0x48
	s_load_b256 s[16:23], s[0:1], 0x50
	s_waitcnt lgkmcnt(0)
	s_bitcmp1_b32 s2, 0
	s_cselect_b32 s5, -1, 0
	s_cmp_lg_u32 s25, 0
	s_cselect_b32 s26, -1, 0
	s_cmp_eq_u32 s25, 0
	s_cselect_b32 s4, -1, 0
	s_delay_alu instid0(SALU_CYCLE_1) | instskip(SKIP_3) | instid1(SALU_CYCLE_1)
	s_and_b32 s2, s4, exec_lo
	s_cselect_b32 s2, 0, s20
	s_cselect_b32 s3, 0, s21
	s_or_b32 s5, s4, s5
	s_and_b32 vcc_lo, exec_lo, s5
	s_xor_b32 s5, s5, -1
	s_cbranch_vccnz .LBB6_2
; %bb.1:
	s_load_b32 s2, s[18:19], 0x0
	s_waitcnt lgkmcnt(0)
	v_mov_b32_e32 v18, s2
	s_mov_b64 s[2:3], s[20:21]
	s_branch .LBB6_3
.LBB6_2:
	v_cndmask_b32_e64 v18, s18, 0, s4
.LBB6_3:
	v_cndmask_b32_e64 v1, 0, 1, s5
	v_dual_mov_b32 v7, s3 :: v_dual_mov_b32 v6, s2
	s_and_not1_b32 vcc_lo, exec_lo, s5
	s_cbranch_vccnz .LBB6_5
; %bb.4:
	v_dual_mov_b32 v2, s20 :: v_dual_mov_b32 v3, s21
	flat_load_b64 v[6:7], v[2:3]
.LBB6_5:
	s_delay_alu instid0(VALU_DEP_2)
	v_cmp_ne_u32_e32 vcc_lo, 1, v1
	s_cbranch_vccnz .LBB6_7
; %bb.6:
	s_load_b32 s2, s[22:23], 0x0
	s_waitcnt lgkmcnt(0)
	v_mov_b32_e32 v17, s2
	s_branch .LBB6_8
.LBB6_7:
	v_cndmask_b32_e64 v17, s22, 0, s4
.LBB6_8:
	s_load_b64 s[20:21], s[0:1], 0x0
	v_lshrrev_b32_e32 v1, 6, v0
	s_lshl_b32 s2, s15, 1
	s_delay_alu instid0(VALU_DEP_1) | instid1(SALU_CYCLE_1)
	v_and_or_b32 v1, 0x3fffffe, s2, v1
	s_mov_b32 s2, exec_lo
	s_waitcnt lgkmcnt(0)
	s_delay_alu instid0(VALU_DEP_1)
	v_cmpx_gt_i32_e64 s21, v1
	s_cbranch_execz .LBB6_153
; %bb.9:
	s_clause 0x1
	s_load_b128 s[12:15], s[0:1], 0x30
	s_load_b64 s[18:19], s[0:1], 0x40
	v_lshlrev_b32_e32 v1, 2, v1
	s_load_b256 s[4:11], s[0:1], 0x8
	v_and_b32_e32 v0, 63, v0
	s_mov_b32 s2, -1
	s_waitcnt lgkmcnt(0)
	global_load_b32 v1, v1, s[14:15]
	s_mov_b32 s15, exec_lo
	s_waitcnt vmcnt(0)
	v_ashrrev_i32_e32 v2, 31, v1
	s_delay_alu instid0(VALU_DEP_1) | instskip(NEXT) | instid1(VALU_DEP_1)
	v_lshlrev_b64 v[2:3], 2, v[1:2]
	v_add_co_u32 v4, vcc_lo, s10, v2
	s_delay_alu instid0(VALU_DEP_2)
	v_add_co_ci_u32_e32 v5, vcc_lo, s11, v3, vcc_lo
	global_load_b32 v4, v[4:5], off
	s_waitcnt vmcnt(0)
	v_cmpx_ne_u32_e32 -1, v4
	s_cbranch_execz .LBB6_147
; %bb.10:
	v_add_co_u32 v8, vcc_lo, s4, v2
	v_add_co_ci_u32_e32 v9, vcc_lo, s5, v3, vcc_lo
	s_load_b32 s14, s[0:1], 0x28
	s_mov_b32 s3, 0
	s_mov_b32 s22, exec_lo
	global_load_b64 v[8:9], v[8:9], off
	s_waitcnt vmcnt(0)
	v_subrev_nc_u32_e32 v8, s24, v8
	v_subrev_nc_u32_e32 v16, s24, v9
	s_delay_alu instid0(VALU_DEP_2)
	v_cmpx_lt_i32_e64 v8, v4
	s_cbranch_execz .LBB6_82
; %bb.11:
	v_add_nc_u32_e32 v10, v8, v0
	s_waitcnt lgkmcnt(0)
	v_mad_u64_u32 v[13:14], null, s14, v8, v[0:1]
	s_cmp_gt_i32 s14, 0
	v_cmp_gt_i32_e64 s0, s14, v0
	v_ashrrev_i32_e32 v11, 31, v10
	s_cselect_b32 s23, -1, 0
	s_cmp_lg_u32 s20, 0
	v_cmp_le_i32_e64 s1, s14, v0
	s_delay_alu instid0(VALU_DEP_4)
	v_mul_lo_u32 v19, s14, v13
	v_lshlrev_b64 v[11:12], 2, v[10:11]
	s_cselect_b32 s27, -1, 0
	s_add_i32 s21, s21, 1
	v_cmp_lt_i32_e64 s2, v10, v16
	s_add_u32 s28, s4, 4
	s_addc_u32 s29, s5, 0
	v_add_co_u32 v11, vcc_lo, s6, v11
	v_add_co_ci_u32_e32 v12, vcc_lo, s7, v12, vcc_lo
	s_add_u32 s30, s6, 0x100
	s_mov_b32 s25, 0
	s_addc_u32 s31, s7, 0
	s_mul_i32 s33, s14, s14
	s_lshl_b32 s34, s14, 6
	s_mov_b32 s35, 0
                                        ; implicit-def: $sgpr36
                                        ; implicit-def: $sgpr37
	s_branch .LBB6_14
.LBB6_12:                               ;   in Loop: Header=BB6_14 Depth=1
	s_or_b32 exec_lo, exec_lo, s4
	s_delay_alu instid0(SALU_CYCLE_1) | instskip(SKIP_1) | instid1(SALU_CYCLE_1)
	s_and_not1_b32 s4, s37, exec_lo
	s_and_b32 s5, s25, exec_lo
	s_or_b32 s37, s4, s5
.LBB6_13:                               ;   in Loop: Header=BB6_14 Depth=1
	s_or_b32 exec_lo, exec_lo, s38
	v_add_nc_u32_e32 v8, 1, v8
	s_xor_b32 s3, s3, -1
	v_add_nc_u32_e32 v19, s33, v19
	s_mov_b32 s25, s37
	s_delay_alu instid0(VALU_DEP_2) | instskip(SKIP_1) | instid1(SALU_CYCLE_1)
	v_cmp_ge_i32_e32 vcc_lo, v8, v4
	s_or_b32 s3, s3, vcc_lo
	s_and_b32 s3, exec_lo, s3
	s_delay_alu instid0(SALU_CYCLE_1) | instskip(SKIP_2) | instid1(SALU_CYCLE_1)
	s_or_b32 s35, s3, s35
	s_and_not1_b32 s3, s36, exec_lo
	s_and_b32 s4, s37, exec_lo
	s_or_b32 s36, s3, s4
	s_and_not1_b32 exec_lo, exec_lo, s35
	s_cbranch_execz .LBB6_81
.LBB6_14:                               ; =>This Loop Header: Depth=1
                                        ;     Child Loop BB6_17 Depth 2
                                        ;     Child Loop BB6_22 Depth 2
                                        ;       Child Loop BB6_27 Depth 3
                                        ;         Child Loop BB6_37 Depth 4
                                        ;     Child Loop BB6_55 Depth 2
                                        ;       Child Loop BB6_60 Depth 3
                                        ;       Child Loop BB6_67 Depth 3
                                        ;         Child Loop BB6_70 Depth 4
                                        ;           Child Loop BB6_72 Depth 5
	v_ashrrev_i32_e32 v9, 31, v8
	s_or_b32 s37, s37, exec_lo
	s_delay_alu instid0(VALU_DEP_1) | instskip(NEXT) | instid1(VALU_DEP_1)
	v_lshlrev_b64 v[13:14], 2, v[8:9]
	v_add_co_u32 v13, vcc_lo, s6, v13
	s_delay_alu instid0(VALU_DEP_2) | instskip(SKIP_4) | instid1(VALU_DEP_1)
	v_add_co_ci_u32_e32 v14, vcc_lo, s7, v14, vcc_lo
	s_waitcnt lgkmcnt(0)
	global_load_b32 v5, v[13:14], off
	s_waitcnt vmcnt(0)
	v_subrev_nc_u32_e32 v13, s24, v5
	v_ashrrev_i32_e32 v14, 31, v13
	s_delay_alu instid0(VALU_DEP_1) | instskip(NEXT) | instid1(VALU_DEP_1)
	v_lshlrev_b64 v[13:14], 2, v[13:14]
	v_add_co_u32 v20, vcc_lo, s10, v13
	s_delay_alu instid0(VALU_DEP_2) | instskip(SKIP_3) | instid1(VALU_DEP_1)
	v_add_co_ci_u32_e32 v21, vcc_lo, s11, v14, vcc_lo
	global_load_b32 v21, v[20:21], off
	s_waitcnt vmcnt(0)
	v_cmp_ne_u32_e64 s3, -1, v21
	s_and_saveexec_b32 s38, s3
	s_cbranch_execz .LBB6_13
; %bb.15:                               ;   in Loop: Header=BB6_14 Depth=1
	v_add_co_u32 v22, vcc_lo, s28, v13
	v_add_co_ci_u32_e32 v23, vcc_lo, s29, v14, vcc_lo
	v_add_co_u32 v13, vcc_lo, s12, v13
	v_add_co_ci_u32_e32 v14, vcc_lo, s13, v14, vcc_lo
	s_mov_b32 s4, exec_lo
	global_load_b32 v22, v[22:23], off
	global_load_b32 v5, v[13:14], off glc
	s_waitcnt vmcnt(0)
	v_cmpx_eq_u32_e32 0, v5
	s_cbranch_execz .LBB6_18
; %bb.16:                               ;   in Loop: Header=BB6_14 Depth=1
	s_mov_b32 s5, 0
.LBB6_17:                               ;   Parent Loop BB6_14 Depth=1
                                        ; =>  This Inner Loop Header: Depth=2
	global_load_b32 v5, v[13:14], off glc
	s_waitcnt vmcnt(0)
	v_cmp_ne_u32_e32 vcc_lo, 0, v5
	s_or_b32 s5, vcc_lo, s5
	s_delay_alu instid0(SALU_CYCLE_1)
	s_and_not1_b32 exec_lo, exec_lo, s5
	s_cbranch_execnz .LBB6_17
.LBB6_18:                               ;   in Loop: Header=BB6_14 Depth=1
	s_or_b32 exec_lo, exec_lo, s4
	v_mul_lo_u32 v20, v8, s14
	s_and_not1_b32 vcc_lo, exec_lo, s23
	buffer_gl1_inv
	buffer_gl0_inv
	s_cbranch_vccnz .LBB6_51
; %bb.19:                               ;   in Loop: Header=BB6_14 Depth=1
	v_mul_lo_u32 v23, v21, s14
	v_mov_b32_e32 v5, 0
	s_mov_b32 s39, 0
	s_branch .LBB6_22
.LBB6_20:                               ;   in Loop: Header=BB6_22 Depth=2
	s_or_b32 exec_lo, exec_lo, s41
	v_mov_b32_e32 v5, v24
.LBB6_21:                               ;   in Loop: Header=BB6_22 Depth=2
	s_or_b32 exec_lo, exec_lo, s40
	s_delay_alu instid0(VALU_DEP_1) | instskip(SKIP_1) | instid1(SALU_CYCLE_1)
	v_cmp_eq_u32_e32 vcc_lo, s14, v5
	s_or_b32 s39, vcc_lo, s39
	s_and_not1_b32 exec_lo, exec_lo, s39
	s_cbranch_execz .LBB6_50
.LBB6_22:                               ;   Parent Loop BB6_14 Depth=1
                                        ; =>  This Loop Header: Depth=2
                                        ;       Child Loop BB6_27 Depth 3
                                        ;         Child Loop BB6_37 Depth 4
	s_delay_alu instid0(VALU_DEP_1) | instskip(SKIP_1) | instid1(SALU_CYCLE_1)
	v_add_nc_u32_e32 v24, 1, v5
	s_and_saveexec_b32 s4, s1
	s_xor_b32 s4, exec_lo, s4
; %bb.23:                               ;   in Loop: Header=BB6_22 Depth=2
	v_add_nc_u32_e32 v5, 1, v5
                                        ; implicit-def: $vgpr24
; %bb.24:                               ;   in Loop: Header=BB6_22 Depth=2
	s_and_not1_saveexec_b32 s40, s4
	s_cbranch_execz .LBB6_21
; %bb.25:                               ;   in Loop: Header=BB6_22 Depth=2
	s_delay_alu instid0(VALU_DEP_1) | instskip(SKIP_2) | instid1(VALU_DEP_2)
	v_dual_mov_b32 v28, v19 :: v_dual_add_nc_u32 v9, v5, v23
	v_cmp_gt_i32_e64 s4, s14, v24
	s_mov_b32 s41, 0
	v_mul_lo_u32 v25, v9, s14
	v_add_nc_u32_e32 v9, v5, v20
	s_delay_alu instid0(VALU_DEP_1) | instskip(SKIP_1) | instid1(VALU_DEP_4)
	v_mul_lo_u32 v27, v9, s14
	v_mov_b32_e32 v9, v0
	v_add_nc_u32_e32 v13, v25, v5
	s_delay_alu instid0(VALU_DEP_1) | instskip(NEXT) | instid1(VALU_DEP_1)
	v_ashrrev_i32_e32 v14, 31, v13
	v_lshlrev_b64 v[13:14], 2, v[13:14]
	s_delay_alu instid0(VALU_DEP_1) | instskip(NEXT) | instid1(VALU_DEP_2)
	v_add_co_u32 v13, vcc_lo, s8, v13
	v_add_co_ci_u32_e32 v14, vcc_lo, s9, v14, vcc_lo
	global_load_b32 v26, v[13:14], off
	s_branch .LBB6_27
.LBB6_26:                               ;   in Loop: Header=BB6_27 Depth=3
	s_or_b32 exec_lo, exec_lo, s42
	v_add_nc_u32_e32 v9, 64, v9
	v_add_nc_u32_e32 v28, s34, v28
	s_delay_alu instid0(VALU_DEP_2) | instskip(SKIP_1) | instid1(SALU_CYCLE_1)
	v_cmp_le_i32_e32 vcc_lo, s14, v9
	s_or_b32 s41, vcc_lo, s41
	s_and_not1_b32 exec_lo, exec_lo, s41
	s_cbranch_execz .LBB6_20
.LBB6_27:                               ;   Parent Loop BB6_14 Depth=1
                                        ;     Parent Loop BB6_22 Depth=2
                                        ; =>    This Loop Header: Depth=3
                                        ;         Child Loop BB6_37 Depth 4
	v_add_nc_u32_e32 v13, v9, v27
	s_and_b32 vcc_lo, exec_lo, s27
	s_cbranch_vccz .LBB6_48
; %bb.28:                               ;   in Loop: Header=BB6_27 Depth=3
	v_add_nc_u32_e32 v14, v9, v27
	v_add_nc_u32_e32 v29, v9, v20
	s_cbranch_execnz .LBB6_30
.LBB6_29:                               ;   in Loop: Header=BB6_27 Depth=3
	s_delay_alu instid0(VALU_DEP_1)
	v_mad_u64_u32 v[14:15], null, v29, s14, v[5:6]
.LBB6_30:                               ;   in Loop: Header=BB6_27 Depth=3
	s_delay_alu instid0(VALU_DEP_1) | instskip(NEXT) | instid1(VALU_DEP_1)
	v_ashrrev_i32_e32 v15, 31, v14
	v_lshlrev_b64 v[14:15], 2, v[14:15]
	s_delay_alu instid0(VALU_DEP_1) | instskip(NEXT) | instid1(VALU_DEP_2)
	v_add_co_u32 v14, vcc_lo, s8, v14
	v_add_co_ci_u32_e32 v15, vcc_lo, s9, v15, vcc_lo
	s_and_b32 vcc_lo, exec_lo, s27
	global_load_b32 v15, v[14:15], off
	s_cbranch_vccz .LBB6_49
; %bb.31:                               ;   in Loop: Header=BB6_27 Depth=3
	s_cbranch_execnz .LBB6_33
.LBB6_32:                               ;   in Loop: Header=BB6_27 Depth=3
	v_mad_u64_u32 v[13:14], null, v29, s14, v[5:6]
.LBB6_33:                               ;   in Loop: Header=BB6_27 Depth=3
	s_waitcnt vmcnt(0)
	v_div_scale_f32 v14, null, v26, v26, v15
	v_div_scale_f32 v31, vcc_lo, v15, v26, v15
	s_delay_alu instid0(VALU_DEP_2) | instskip(SKIP_2) | instid1(VALU_DEP_1)
	v_rcp_f32_e32 v29, v14
	s_waitcnt_depctr 0xfff
	v_fma_f32 v30, -v14, v29, 1.0
	v_fmac_f32_e32 v29, v30, v29
	s_delay_alu instid0(VALU_DEP_1) | instskip(NEXT) | instid1(VALU_DEP_1)
	v_mul_f32_e32 v30, v31, v29
	v_fma_f32 v32, -v14, v30, v31
	s_delay_alu instid0(VALU_DEP_1) | instskip(NEXT) | instid1(VALU_DEP_1)
	v_fmac_f32_e32 v30, v32, v29
	v_fma_f32 v31, -v14, v30, v31
	v_ashrrev_i32_e32 v14, 31, v13
	s_delay_alu instid0(VALU_DEP_2) | instskip(NEXT) | instid1(VALU_DEP_2)
	v_div_fmas_f32 v29, v31, v29, v30
	v_lshlrev_b64 v[13:14], 2, v[13:14]
	s_delay_alu instid0(VALU_DEP_2) | instskip(NEXT) | instid1(VALU_DEP_2)
	v_div_fixup_f32 v15, v29, v26, v15
	v_add_co_u32 v13, vcc_lo, s8, v13
	s_delay_alu instid0(VALU_DEP_3)
	v_add_co_ci_u32_e32 v14, vcc_lo, s9, v14, vcc_lo
	global_store_b32 v[13:14], v15, off
	s_and_saveexec_b32 s42, s4
	s_cbranch_execz .LBB6_26
; %bb.34:                               ;   in Loop: Header=BB6_27 Depth=3
	v_mov_b32_e32 v29, v24
	s_mov_b32 s43, 0
	s_branch .LBB6_37
.LBB6_35:                               ;   in Loop: Header=BB6_37 Depth=4
	v_mov_b32_e32 v13, v32
.LBB6_36:                               ;   in Loop: Header=BB6_37 Depth=4
	s_delay_alu instid0(VALU_DEP_1) | instskip(SKIP_3) | instid1(VALU_DEP_3)
	v_ashrrev_i32_e32 v14, 31, v13
	v_add_nc_u32_e32 v29, 1, v29
	s_waitcnt vmcnt(0)
	v_fma_f32 v30, -v15, v30, v33
	v_lshlrev_b64 v[13:14], 2, v[13:14]
	s_delay_alu instid0(VALU_DEP_3) | instskip(SKIP_1) | instid1(VALU_DEP_2)
	v_cmp_le_i32_e32 vcc_lo, s14, v29
	s_or_b32 s43, vcc_lo, s43
	v_add_co_u32 v13, s5, s8, v13
	s_delay_alu instid0(VALU_DEP_1)
	v_add_co_ci_u32_e64 v14, s5, s9, v14, s5
	global_store_b32 v[13:14], v30, off
	s_and_not1_b32 exec_lo, exec_lo, s43
	s_cbranch_execz .LBB6_26
.LBB6_37:                               ;   Parent Loop BB6_14 Depth=1
                                        ;     Parent Loop BB6_22 Depth=2
                                        ;       Parent Loop BB6_27 Depth=3
                                        ; =>      This Inner Loop Header: Depth=4
	s_and_b32 vcc_lo, exec_lo, s27
	s_cbranch_vccz .LBB6_45
; %bb.38:                               ;   in Loop: Header=BB6_37 Depth=4
	v_add_nc_u32_e32 v30, v29, v23
	s_delay_alu instid0(VALU_DEP_1)
	v_mad_u64_u32 v[13:14], null, v30, s14, v[5:6]
	s_cbranch_execnz .LBB6_40
.LBB6_39:                               ;   in Loop: Header=BB6_37 Depth=4
	v_add_nc_u32_e32 v13, v25, v29
.LBB6_40:                               ;   in Loop: Header=BB6_37 Depth=4
	s_delay_alu instid0(VALU_DEP_1) | instskip(SKIP_1) | instid1(VALU_DEP_2)
	v_ashrrev_i32_e32 v14, 31, v13
	v_add_nc_u32_e32 v31, v29, v20
	v_lshlrev_b64 v[13:14], 2, v[13:14]
	s_delay_alu instid0(VALU_DEP_1) | instskip(NEXT) | instid1(VALU_DEP_2)
	v_add_co_u32 v13, vcc_lo, s8, v13
	v_add_co_ci_u32_e32 v14, vcc_lo, s9, v14, vcc_lo
	s_and_b32 vcc_lo, exec_lo, s27
	global_load_b32 v30, v[13:14], off
	s_cbranch_vccz .LBB6_46
; %bb.41:                               ;   in Loop: Header=BB6_37 Depth=4
	v_mad_u64_u32 v[13:14], null, v31, s14, v[9:10]
	v_add_nc_u32_e32 v32, v28, v29
	s_cbranch_execnz .LBB6_43
.LBB6_42:                               ;   in Loop: Header=BB6_37 Depth=4
	v_add_nc_u32_e32 v13, v28, v29
.LBB6_43:                               ;   in Loop: Header=BB6_37 Depth=4
	s_delay_alu instid0(VALU_DEP_1) | instskip(NEXT) | instid1(VALU_DEP_1)
	v_ashrrev_i32_e32 v14, 31, v13
	v_lshlrev_b64 v[13:14], 2, v[13:14]
	s_delay_alu instid0(VALU_DEP_1) | instskip(NEXT) | instid1(VALU_DEP_2)
	v_add_co_u32 v13, vcc_lo, s8, v13
	v_add_co_ci_u32_e32 v14, vcc_lo, s9, v14, vcc_lo
	s_and_b32 vcc_lo, exec_lo, s27
	global_load_b32 v33, v[13:14], off
	s_cbranch_vccz .LBB6_47
; %bb.44:                               ;   in Loop: Header=BB6_37 Depth=4
	v_mad_u64_u32 v[13:14], null, v31, s14, v[9:10]
	s_cbranch_execnz .LBB6_36
	s_branch .LBB6_35
.LBB6_45:                               ;   in Loop: Header=BB6_37 Depth=4
                                        ; implicit-def: $vgpr13
	s_branch .LBB6_39
.LBB6_46:                               ;   in Loop: Header=BB6_37 Depth=4
                                        ; implicit-def: $vgpr13
	v_add_nc_u32_e32 v32, v28, v29
	s_branch .LBB6_42
.LBB6_47:                               ;   in Loop: Header=BB6_37 Depth=4
                                        ; implicit-def: $vgpr13
	s_branch .LBB6_35
.LBB6_48:                               ;   in Loop: Header=BB6_27 Depth=3
                                        ; implicit-def: $vgpr14
	v_add_nc_u32_e32 v29, v9, v20
	s_branch .LBB6_29
.LBB6_49:                               ;   in Loop: Header=BB6_27 Depth=3
                                        ; implicit-def: $vgpr13
	s_branch .LBB6_32
.LBB6_50:                               ;   in Loop: Header=BB6_14 Depth=1
	s_or_b32 exec_lo, exec_lo, s39
.LBB6_51:                               ;   in Loop: Header=BB6_14 Depth=1
	v_subrev_nc_u32_e32 v9, s24, v22
	v_add_nc_u32_e32 v13, 1, v21
	s_mov_b32 s4, exec_lo
	s_delay_alu instid0(VALU_DEP_1)
	v_cmpx_lt_i32_e64 v13, v9
	s_cbranch_execz .LBB6_12
; %bb.52:                               ;   in Loop: Header=BB6_14 Depth=1
	v_mul_lo_u32 v21, s33, v13
	s_mov_b32 s5, 0
	s_branch .LBB6_55
.LBB6_53:                               ;   in Loop: Header=BB6_55 Depth=2
	s_or_b32 exec_lo, exec_lo, s39
.LBB6_54:                               ;   in Loop: Header=BB6_55 Depth=2
	v_add_nc_u32_e32 v13, 1, v13
	v_add_nc_u32_e32 v21, s33, v21
	s_delay_alu instid0(VALU_DEP_2) | instskip(SKIP_1) | instid1(SALU_CYCLE_1)
	v_cmp_ge_i32_e32 vcc_lo, v13, v9
	s_or_b32 s5, vcc_lo, s5
	s_and_not1_b32 exec_lo, exec_lo, s5
	s_cbranch_execz .LBB6_12
.LBB6_55:                               ;   Parent Loop BB6_14 Depth=1
                                        ; =>  This Loop Header: Depth=2
                                        ;       Child Loop BB6_60 Depth 3
                                        ;       Child Loop BB6_67 Depth 3
                                        ;         Child Loop BB6_70 Depth 4
                                        ;           Child Loop BB6_72 Depth 5
	v_ashrrev_i32_e32 v14, 31, v13
	s_delay_alu instid0(VALU_DEP_1) | instskip(NEXT) | instid1(VALU_DEP_1)
	v_lshlrev_b64 v[14:15], 2, v[13:14]
	v_add_co_u32 v14, vcc_lo, s6, v14
	s_delay_alu instid0(VALU_DEP_2)
	v_add_co_ci_u32_e32 v15, vcc_lo, s7, v15, vcc_lo
	s_waitcnt lgkmcnt(0)
	global_load_b32 v5, v[14:15], off
	v_mov_b32_e32 v15, s21
	s_and_saveexec_b32 s39, s2
	s_cbranch_execz .LBB6_57
; %bb.56:                               ;   in Loop: Header=BB6_55 Depth=2
	global_load_b32 v14, v[11:12], off
	s_waitcnt vmcnt(0)
	v_subrev_nc_u32_e32 v15, s24, v14
.LBB6_57:                               ;   in Loop: Header=BB6_55 Depth=2
	s_or_b32 exec_lo, exec_lo, s39
	s_waitcnt vmcnt(0)
	v_subrev_nc_u32_e32 v5, s24, v5
	v_mov_b32_e32 v22, v10
	s_mov_b32 s39, exec_lo
	s_delay_alu instid0(VALU_DEP_2)
	v_cmpx_lt_i32_e64 v15, v5
	s_cbranch_execz .LBB6_63
; %bb.58:                               ;   in Loop: Header=BB6_55 Depth=2
	v_mov_b32_e32 v14, v10
	s_mov_b32 s40, 0
	s_branch .LBB6_60
	.p2align	6
.LBB6_59:                               ;   in Loop: Header=BB6_60 Depth=3
	s_or_b32 exec_lo, exec_lo, s41
	s_delay_alu instid0(VALU_DEP_1) | instskip(SKIP_2) | instid1(SALU_CYCLE_1)
	v_cmp_ge_i32_e32 vcc_lo, v15, v5
	v_mov_b32_e32 v14, v22
	s_or_b32 s40, vcc_lo, s40
	s_and_not1_b32 exec_lo, exec_lo, s40
	s_cbranch_execz .LBB6_62
.LBB6_60:                               ;   Parent Loop BB6_14 Depth=1
                                        ;     Parent Loop BB6_55 Depth=2
                                        ; =>    This Inner Loop Header: Depth=3
	s_delay_alu instid0(VALU_DEP_1) | instskip(SKIP_1) | instid1(VALU_DEP_1)
	v_dual_mov_b32 v15, s21 :: v_dual_add_nc_u32 v22, 64, v14
	s_mov_b32 s41, exec_lo
	v_cmpx_lt_i32_e64 v22, v16
	s_cbranch_execz .LBB6_59
; %bb.61:                               ;   in Loop: Header=BB6_60 Depth=3
	v_ashrrev_i32_e32 v15, 31, v14
	s_delay_alu instid0(VALU_DEP_1) | instskip(NEXT) | instid1(VALU_DEP_1)
	v_lshlrev_b64 v[14:15], 2, v[14:15]
	v_add_co_u32 v14, vcc_lo, s30, v14
	s_delay_alu instid0(VALU_DEP_2)
	v_add_co_ci_u32_e32 v15, vcc_lo, s31, v15, vcc_lo
	global_load_b32 v14, v[14:15], off
	s_waitcnt vmcnt(0)
	v_subrev_nc_u32_e32 v15, s24, v14
	s_branch .LBB6_59
.LBB6_62:                               ;   in Loop: Header=BB6_55 Depth=2
	s_or_b32 exec_lo, exec_lo, s40
.LBB6_63:                               ;   in Loop: Header=BB6_55 Depth=2
	s_delay_alu instid0(SALU_CYCLE_1)
	s_or_b32 exec_lo, exec_lo, s39
	v_cmp_eq_u32_e32 vcc_lo, v15, v5
	s_cbranch_vccz .LBB6_54
; %bb.64:                               ;   in Loop: Header=BB6_55 Depth=2
	s_ctz_i32_b32 s39, vcc_lo
	s_delay_alu instid0(SALU_CYCLE_1) | instskip(NEXT) | instid1(SALU_CYCLE_1)
	s_lshl_b32 s39, s39, 2
	v_mov_b32_e32 v5, s39
	ds_bpermute_b32 v5, v5, v22
	s_and_saveexec_b32 s39, s0
	s_cbranch_execz .LBB6_53
; %bb.65:                               ;   in Loop: Header=BB6_55 Depth=2
	v_mul_lo_u32 v22, v13, s14
	s_waitcnt lgkmcnt(0)
	v_mul_lo_u32 v23, v5, s14
	v_dual_mov_b32 v24, v19 :: v_dual_mov_b32 v5, v0
	s_mov_b32 s40, 0
	s_branch .LBB6_67
.LBB6_66:                               ;   in Loop: Header=BB6_67 Depth=3
	v_add_nc_u32_e32 v5, 64, v5
	v_add_nc_u32_e32 v24, s34, v24
	s_delay_alu instid0(VALU_DEP_2) | instskip(SKIP_1) | instid1(SALU_CYCLE_1)
	v_cmp_le_i32_e32 vcc_lo, s14, v5
	s_or_b32 s40, vcc_lo, s40
	s_and_not1_b32 exec_lo, exec_lo, s40
	s_cbranch_execz .LBB6_53
.LBB6_67:                               ;   Parent Loop BB6_14 Depth=1
                                        ;     Parent Loop BB6_55 Depth=2
                                        ; =>    This Loop Header: Depth=3
                                        ;         Child Loop BB6_70 Depth 4
                                        ;           Child Loop BB6_72 Depth 5
	s_delay_alu instid0(VALU_DEP_1) | instskip(SKIP_2) | instid1(VALU_DEP_2)
	v_add_nc_u32_e32 v14, v5, v23
	v_mov_b32_e32 v26, v21
	s_mov_b32 s41, 0
	v_mul_lo_u32 v25, v14, s14
	s_branch .LBB6_70
.LBB6_68:                               ;   in Loop: Header=BB6_70 Depth=4
	v_add_nc_u32_e32 v14, s41, v25
.LBB6_69:                               ;   in Loop: Header=BB6_70 Depth=4
	s_delay_alu instid0(VALU_DEP_1) | instskip(SKIP_3) | instid1(VALU_DEP_2)
	v_ashrrev_i32_e32 v15, 31, v14
	s_add_i32 s41, s41, 1
	v_add_nc_u32_e32 v26, 1, v26
	s_cmp_eq_u32 s41, s14
	v_lshlrev_b64 v[14:15], 2, v[14:15]
	s_delay_alu instid0(VALU_DEP_1) | instskip(NEXT) | instid1(VALU_DEP_2)
	v_add_co_u32 v14, vcc_lo, s8, v14
	v_add_co_ci_u32_e32 v15, vcc_lo, s9, v15, vcc_lo
	global_load_b32 v28, v[14:15], off
	s_waitcnt vmcnt(0)
	v_sub_f32_e32 v27, v28, v27
	global_store_b32 v[14:15], v27, off
	s_cbranch_scc1 .LBB6_66
.LBB6_70:                               ;   Parent Loop BB6_14 Depth=1
                                        ;     Parent Loop BB6_55 Depth=2
                                        ;       Parent Loop BB6_67 Depth=3
                                        ; =>      This Loop Header: Depth=4
                                        ;           Child Loop BB6_72 Depth 5
	v_dual_mov_b32 v27, 0 :: v_dual_add_nc_u32 v14, s41, v22
	v_mov_b32_e32 v29, v26
	s_mov_b32 s42, 0
	s_delay_alu instid0(VALU_DEP_2)
	v_mul_lo_u32 v28, v14, s14
	s_set_inst_prefetch_distance 0x1
	s_branch .LBB6_72
	.p2align	6
.LBB6_71:                               ;   in Loop: Header=BB6_72 Depth=5
	s_delay_alu instid0(VALU_DEP_1) | instskip(SKIP_2) | instid1(SALU_CYCLE_1)
	v_ashrrev_i32_e32 v15, 31, v14
	v_add_nc_u32_e32 v29, s14, v29
	s_add_i32 s42, s42, 1
	s_cmp_eq_u32 s14, s42
	s_delay_alu instid0(VALU_DEP_2) | instskip(NEXT) | instid1(VALU_DEP_1)
	v_lshlrev_b64 v[14:15], 2, v[14:15]
	v_add_co_u32 v14, vcc_lo, s8, v14
	s_delay_alu instid0(VALU_DEP_2)
	v_add_co_ci_u32_e32 v15, vcc_lo, s9, v15, vcc_lo
	global_load_b32 v14, v[14:15], off
	s_waitcnt vmcnt(0)
	v_fmac_f32_e32 v27, v30, v14
	s_cbranch_scc1 .LBB6_78
.LBB6_72:                               ;   Parent Loop BB6_14 Depth=1
                                        ;     Parent Loop BB6_55 Depth=2
                                        ;       Parent Loop BB6_67 Depth=3
                                        ;         Parent Loop BB6_70 Depth=4
                                        ; =>        This Inner Loop Header: Depth=5
	s_and_b32 vcc_lo, exec_lo, s27
	s_cbranch_vccz .LBB6_77
; %bb.73:                               ;   in Loop: Header=BB6_72 Depth=5
	v_add_nc_u32_e32 v30, s42, v20
	s_delay_alu instid0(VALU_DEP_1)
	v_mad_u64_u32 v[14:15], null, v30, s14, v[5:6]
	s_cbranch_execnz .LBB6_75
.LBB6_74:                               ;   in Loop: Header=BB6_72 Depth=5
	v_add_nc_u32_e32 v14, s42, v24
.LBB6_75:                               ;   in Loop: Header=BB6_72 Depth=5
	s_delay_alu instid0(VALU_DEP_1) | instskip(NEXT) | instid1(VALU_DEP_1)
	v_ashrrev_i32_e32 v15, 31, v14
	v_lshlrev_b64 v[14:15], 2, v[14:15]
	s_delay_alu instid0(VALU_DEP_1) | instskip(NEXT) | instid1(VALU_DEP_2)
	v_add_co_u32 v14, vcc_lo, s8, v14
	v_add_co_ci_u32_e32 v15, vcc_lo, s9, v15, vcc_lo
	s_and_not1_b32 vcc_lo, exec_lo, s27
	global_load_b32 v30, v[14:15], off
	v_mov_b32_e32 v14, v29
	s_cbranch_vccnz .LBB6_71
; %bb.76:                               ;   in Loop: Header=BB6_72 Depth=5
	v_add_nc_u32_e32 v14, s42, v28
	s_branch .LBB6_71
	.p2align	6
.LBB6_77:                               ;   in Loop: Header=BB6_72 Depth=5
                                        ; implicit-def: $vgpr14
	s_branch .LBB6_74
.LBB6_78:                               ;   in Loop: Header=BB6_70 Depth=4
	s_set_inst_prefetch_distance 0x2
	s_and_b32 vcc_lo, exec_lo, s27
	s_cbranch_vccz .LBB6_80
; %bb.79:                               ;   in Loop: Header=BB6_70 Depth=4
	v_add_nc_u32_e32 v28, s41, v23
	s_delay_alu instid0(VALU_DEP_1)
	v_mad_u64_u32 v[14:15], null, v28, s14, v[5:6]
	s_cbranch_execnz .LBB6_69
	s_branch .LBB6_68
.LBB6_80:                               ;   in Loop: Header=BB6_70 Depth=4
                                        ; implicit-def: $vgpr14
	s_branch .LBB6_68
.LBB6_81:
	s_or_b32 exec_lo, exec_lo, s35
	s_delay_alu instid0(SALU_CYCLE_1)
	s_and_b32 s3, s36, exec_lo
.LBB6_82:
	s_or_b32 exec_lo, exec_lo, s22
	s_waitcnt lgkmcnt(0)
	v_ashrrev_i32_e32 v5, 31, v4
	s_cmp_gt_i32 s14, 0
	s_cselect_b32 s4, -1, 0
	s_delay_alu instid0(VALU_DEP_1) | instskip(NEXT) | instid1(VALU_DEP_1)
	v_lshlrev_b64 v[8:9], 2, v[4:5]
	v_add_co_u32 v8, vcc_lo, s6, v8
	s_delay_alu instid0(VALU_DEP_2) | instskip(SKIP_4) | instid1(VALU_DEP_1)
	v_add_co_ci_u32_e32 v9, vcc_lo, s7, v9, vcc_lo
	s_mov_b32 s6, 0
	global_load_b32 v5, v[8:9], off
	s_waitcnt vmcnt(0)
	v_subrev_nc_u32_e32 v5, s24, v5
	v_cmp_eq_u32_e32 vcc_lo, v5, v1
	s_and_b32 s0, s4, vcc_lo
	s_delay_alu instid0(SALU_CYCLE_1)
	s_and_saveexec_b32 s5, s0
	s_cbranch_execz .LBB6_122
; %bb.83:
	v_cvt_f64_f32_e32 v[8:9], v18
	v_mul_lo_u32 v12, v4, s14
	s_cmp_eq_u64 s[16:17], 8
	v_cmp_eq_u32_e64 s0, 0, v0
	s_cselect_b32 vcc_lo, -1, 0
	v_mov_b32_e32 v5, 0
	s_cmp_lg_u32 s20, 0
	s_mov_b32 s16, s3
	s_cselect_b32 s7, -1, 0
	v_add3_u32 v13, v12, v0, 1
	s_lshl_b32 s10, s14, 6
                                        ; implicit-def: $sgpr11
	v_dual_cndmask_b32 v6, v8, v6 :: v_dual_cndmask_b32 v7, v9, v7
	s_branch .LBB6_85
.LBB6_84:                               ;   in Loop: Header=BB6_85 Depth=1
	s_or_b32 exec_lo, exec_lo, s1
	s_delay_alu instid0(VALU_DEP_1) | instskip(SKIP_4) | instid1(SALU_CYCLE_1)
	v_cmp_eq_u32_e32 vcc_lo, s14, v18
	v_mov_b32_e32 v5, v18
	s_or_b32 s6, vcc_lo, s6
	s_and_not1_b32 s1, s11, exec_lo
	s_and_b32 s2, s16, exec_lo
	s_or_b32 s11, s1, s2
	s_and_not1_b32 exec_lo, exec_lo, s6
	s_cbranch_execz .LBB6_121
.LBB6_85:                               ; =>This Loop Header: Depth=1
                                        ;     Child Loop BB6_95 Depth 2
                                        ;       Child Loop BB6_105 Depth 3
	v_add_nc_u32_e32 v8, v5, v12
	s_mov_b32 s17, 0
	s_delay_alu instid0(VALU_DEP_1) | instskip(NEXT) | instid1(VALU_DEP_1)
	v_mul_lo_u32 v14, v8, s14
	v_add_nc_u32_e32 v8, v14, v5
	s_delay_alu instid0(VALU_DEP_1) | instskip(NEXT) | instid1(VALU_DEP_1)
	v_ashrrev_i32_e32 v9, 31, v8
	v_lshlrev_b64 v[8:9], 2, v[8:9]
	s_delay_alu instid0(VALU_DEP_1) | instskip(NEXT) | instid1(VALU_DEP_2)
	v_add_co_u32 v8, vcc_lo, s8, v8
	v_add_co_ci_u32_e32 v9, vcc_lo, s9, v9, vcc_lo
	s_and_not1_b32 vcc_lo, exec_lo, s26
	global_load_b32 v15, v[8:9], off
	s_cbranch_vccnz .LBB6_90
; %bb.86:                               ;   in Loop: Header=BB6_85 Depth=1
	s_waitcnt vmcnt(0)
	v_cmp_gt_f32_e32 vcc_lo, 0, v15
	v_cndmask_b32_e64 v10, v15, -v15, vcc_lo
	s_delay_alu instid0(VALU_DEP_1) | instskip(NEXT) | instid1(VALU_DEP_1)
	v_cvt_f64_f32_e32 v[10:11], v10
	v_cmp_ge_f64_e32 vcc_lo, v[6:7], v[10:11]
	v_cndmask_b32_e32 v10, v15, v17, vcc_lo
	s_and_saveexec_b32 s1, s0
	s_cbranch_execz .LBB6_88
; %bb.87:                               ;   in Loop: Header=BB6_85 Depth=1
	global_store_b32 v[8:9], v10, off
.LBB6_88:                               ;   in Loop: Header=BB6_85 Depth=1
	s_or_b32 exec_lo, exec_lo, s1
	s_mov_b32 s1, -1
	s_cbranch_execz .LBB6_91
; %bb.89:                               ;   in Loop: Header=BB6_85 Depth=1
	s_waitcnt vmcnt(0)
	v_mov_b32_e32 v15, v10
                                        ; implicit-def: $sgpr2
                                        ; implicit-def: $vgpr18
	s_and_saveexec_b32 s21, s1
	s_delay_alu instid0(SALU_CYCLE_1)
	s_xor_b32 s21, exec_lo, s21
	s_cbranch_execz .LBB6_119
	s_branch .LBB6_92
.LBB6_90:                               ;   in Loop: Header=BB6_85 Depth=1
	s_mov_b32 s1, 0
                                        ; implicit-def: $vgpr10
.LBB6_91:                               ;   in Loop: Header=BB6_85 Depth=1
	s_waitcnt vmcnt(0)
	v_cmp_neq_f32_e32 vcc_lo, 0, v15
	s_and_not1_b32 s1, s1, exec_lo
	s_mov_b32 s17, -1
	s_and_b32 s2, vcc_lo, exec_lo
	s_delay_alu instid0(SALU_CYCLE_1) | instskip(NEXT) | instid1(SALU_CYCLE_1)
	s_or_b32 s1, s1, s2
                                        ; implicit-def: $sgpr2
                                        ; implicit-def: $vgpr18
	s_and_saveexec_b32 s21, s1
	s_delay_alu instid0(SALU_CYCLE_1)
	s_xor_b32 s21, exec_lo, s21
	s_cbranch_execz .LBB6_119
.LBB6_92:                               ;   in Loop: Header=BB6_85 Depth=1
	v_add_nc_u32_e32 v18, 1, v5
	s_mov_b32 s22, exec_lo
	s_delay_alu instid0(VALU_DEP_1) | instskip(NEXT) | instid1(VALU_DEP_1)
	v_add_nc_u32_e32 v8, v18, v0
	v_cmpx_gt_i32_e64 s14, v8
	s_cbranch_execz .LBB6_118
; %bb.93:                               ;   in Loop: Header=BB6_85 Depth=1
	v_add_nc_u32_e32 v9, v13, v5
	v_cmp_gt_i32_e64 s1, s14, v18
	s_mov_b32 s23, 0
	s_delay_alu instid0(VALU_DEP_2)
	v_mul_lo_u32 v19, s14, v9
	s_branch .LBB6_95
.LBB6_94:                               ;   in Loop: Header=BB6_95 Depth=2
	s_or_b32 exec_lo, exec_lo, s25
	v_add_nc_u32_e32 v8, 64, v8
	v_add_nc_u32_e32 v19, s10, v19
	s_delay_alu instid0(VALU_DEP_2) | instskip(SKIP_1) | instid1(SALU_CYCLE_1)
	v_cmp_le_i32_e32 vcc_lo, s14, v8
	s_or_b32 s23, vcc_lo, s23
	s_and_not1_b32 exec_lo, exec_lo, s23
	s_cbranch_execz .LBB6_118
.LBB6_95:                               ;   Parent Loop BB6_85 Depth=1
                                        ; =>  This Loop Header: Depth=2
                                        ;       Child Loop BB6_105 Depth 3
	v_add_nc_u32_e32 v9, v8, v14
	s_and_b32 vcc_lo, exec_lo, s7
	s_cbranch_vccz .LBB6_116
; %bb.96:                               ;   in Loop: Header=BB6_95 Depth=2
	v_add_nc_u32_e32 v10, v8, v14
	s_cbranch_execnz .LBB6_98
.LBB6_97:                               ;   in Loop: Header=BB6_95 Depth=2
	v_add_nc_u32_e32 v20, v8, v12
	s_delay_alu instid0(VALU_DEP_1)
	v_mad_u64_u32 v[10:11], null, v20, s14, v[5:6]
.LBB6_98:                               ;   in Loop: Header=BB6_95 Depth=2
	s_delay_alu instid0(VALU_DEP_1) | instskip(NEXT) | instid1(VALU_DEP_1)
	v_ashrrev_i32_e32 v11, 31, v10
	v_lshlrev_b64 v[10:11], 2, v[10:11]
	s_delay_alu instid0(VALU_DEP_1) | instskip(NEXT) | instid1(VALU_DEP_2)
	v_add_co_u32 v10, vcc_lo, s8, v10
	v_add_co_ci_u32_e32 v11, vcc_lo, s9, v11, vcc_lo
	s_and_b32 vcc_lo, exec_lo, s7
	global_load_b32 v11, v[10:11], off
	s_cbranch_vccz .LBB6_117
; %bb.99:                               ;   in Loop: Header=BB6_95 Depth=2
	s_cbranch_execnz .LBB6_101
.LBB6_100:                              ;   in Loop: Header=BB6_95 Depth=2
	v_add_nc_u32_e32 v20, v8, v12
	s_delay_alu instid0(VALU_DEP_1)
	v_mad_u64_u32 v[9:10], null, v20, s14, v[5:6]
.LBB6_101:                              ;   in Loop: Header=BB6_95 Depth=2
	s_waitcnt vmcnt(0)
	v_div_scale_f32 v10, null, v15, v15, v11
	v_div_scale_f32 v22, vcc_lo, v11, v15, v11
	s_delay_alu instid0(VALU_DEP_2) | instskip(SKIP_2) | instid1(VALU_DEP_1)
	v_rcp_f32_e32 v20, v10
	s_waitcnt_depctr 0xfff
	v_fma_f32 v21, -v10, v20, 1.0
	v_fmac_f32_e32 v20, v21, v20
	s_delay_alu instid0(VALU_DEP_1) | instskip(NEXT) | instid1(VALU_DEP_1)
	v_mul_f32_e32 v21, v22, v20
	v_fma_f32 v23, -v10, v21, v22
	s_delay_alu instid0(VALU_DEP_1) | instskip(NEXT) | instid1(VALU_DEP_1)
	v_fmac_f32_e32 v21, v23, v20
	v_fma_f32 v22, -v10, v21, v22
	v_ashrrev_i32_e32 v10, 31, v9
	s_delay_alu instid0(VALU_DEP_2) | instskip(NEXT) | instid1(VALU_DEP_2)
	v_div_fmas_f32 v20, v22, v20, v21
	v_lshlrev_b64 v[9:10], 2, v[9:10]
	s_delay_alu instid0(VALU_DEP_2) | instskip(NEXT) | instid1(VALU_DEP_2)
	v_div_fixup_f32 v11, v20, v15, v11
	v_add_co_u32 v9, vcc_lo, s8, v9
	s_delay_alu instid0(VALU_DEP_3)
	v_add_co_ci_u32_e32 v10, vcc_lo, s9, v10, vcc_lo
	global_store_b32 v[9:10], v11, off
	s_and_saveexec_b32 s25, s1
	s_cbranch_execz .LBB6_94
; %bb.102:                              ;   in Loop: Header=BB6_95 Depth=2
	v_mov_b32_e32 v20, v18
	s_mov_b32 s27, 0
	s_branch .LBB6_105
.LBB6_103:                              ;   in Loop: Header=BB6_105 Depth=3
	v_add_nc_u32_e32 v9, v19, v20
.LBB6_104:                              ;   in Loop: Header=BB6_105 Depth=3
	s_delay_alu instid0(VALU_DEP_1) | instskip(SKIP_3) | instid1(VALU_DEP_3)
	v_ashrrev_i32_e32 v10, 31, v9
	v_add_nc_u32_e32 v20, 1, v20
	s_waitcnt vmcnt(0)
	v_fma_f32 v21, -v11, v22, v23
	v_lshlrev_b64 v[9:10], 2, v[9:10]
	s_delay_alu instid0(VALU_DEP_3) | instskip(SKIP_1) | instid1(VALU_DEP_2)
	v_cmp_le_i32_e32 vcc_lo, s14, v20
	s_or_b32 s27, vcc_lo, s27
	v_add_co_u32 v9, s2, s8, v9
	s_delay_alu instid0(VALU_DEP_1)
	v_add_co_ci_u32_e64 v10, s2, s9, v10, s2
	global_store_b32 v[9:10], v21, off
	s_and_not1_b32 exec_lo, exec_lo, s27
	s_cbranch_execz .LBB6_94
.LBB6_105:                              ;   Parent Loop BB6_85 Depth=1
                                        ;     Parent Loop BB6_95 Depth=2
                                        ; =>    This Inner Loop Header: Depth=3
	s_delay_alu instid0(VALU_DEP_1)
	v_add_nc_u32_e32 v21, v20, v12
	s_and_b32 vcc_lo, exec_lo, s7
	s_cbranch_vccz .LBB6_113
; %bb.106:                              ;   in Loop: Header=BB6_105 Depth=3
	s_delay_alu instid0(VALU_DEP_1)
	v_mad_u64_u32 v[9:10], null, v21, s14, v[5:6]
	s_cbranch_execnz .LBB6_108
.LBB6_107:                              ;   in Loop: Header=BB6_105 Depth=3
	v_add_nc_u32_e32 v9, v14, v20
.LBB6_108:                              ;   in Loop: Header=BB6_105 Depth=3
	s_delay_alu instid0(VALU_DEP_1) | instskip(NEXT) | instid1(VALU_DEP_1)
	v_ashrrev_i32_e32 v10, 31, v9
	v_lshlrev_b64 v[9:10], 2, v[9:10]
	s_delay_alu instid0(VALU_DEP_1) | instskip(NEXT) | instid1(VALU_DEP_2)
	v_add_co_u32 v9, vcc_lo, s8, v9
	v_add_co_ci_u32_e32 v10, vcc_lo, s9, v10, vcc_lo
	s_and_b32 vcc_lo, exec_lo, s7
	global_load_b32 v22, v[9:10], off
	s_cbranch_vccz .LBB6_114
; %bb.109:                              ;   in Loop: Header=BB6_105 Depth=3
	v_mad_u64_u32 v[9:10], null, v21, s14, v[8:9]
	s_cbranch_execnz .LBB6_111
.LBB6_110:                              ;   in Loop: Header=BB6_105 Depth=3
	v_add_nc_u32_e32 v9, v19, v20
.LBB6_111:                              ;   in Loop: Header=BB6_105 Depth=3
	s_delay_alu instid0(VALU_DEP_1) | instskip(NEXT) | instid1(VALU_DEP_1)
	v_ashrrev_i32_e32 v10, 31, v9
	v_lshlrev_b64 v[9:10], 2, v[9:10]
	s_delay_alu instid0(VALU_DEP_1) | instskip(NEXT) | instid1(VALU_DEP_2)
	v_add_co_u32 v9, vcc_lo, s8, v9
	v_add_co_ci_u32_e32 v10, vcc_lo, s9, v10, vcc_lo
	s_and_b32 vcc_lo, exec_lo, s7
	global_load_b32 v23, v[9:10], off
	s_cbranch_vccz .LBB6_115
; %bb.112:                              ;   in Loop: Header=BB6_105 Depth=3
	v_mad_u64_u32 v[9:10], null, v21, s14, v[8:9]
	s_cbranch_execnz .LBB6_104
	s_branch .LBB6_103
.LBB6_113:                              ;   in Loop: Header=BB6_105 Depth=3
                                        ; implicit-def: $vgpr9
	s_branch .LBB6_107
.LBB6_114:                              ;   in Loop: Header=BB6_105 Depth=3
                                        ; implicit-def: $vgpr9
	s_branch .LBB6_110
.LBB6_115:                              ;   in Loop: Header=BB6_105 Depth=3
                                        ; implicit-def: $vgpr9
	s_branch .LBB6_103
.LBB6_116:                              ;   in Loop: Header=BB6_95 Depth=2
                                        ; implicit-def: $vgpr10
	s_branch .LBB6_97
.LBB6_117:                              ;   in Loop: Header=BB6_95 Depth=2
                                        ; implicit-def: $vgpr9
	s_branch .LBB6_100
.LBB6_118:                              ;   in Loop: Header=BB6_85 Depth=1
	s_or_b32 exec_lo, exec_lo, s22
	s_delay_alu instid0(SALU_CYCLE_1)
	s_and_b32 s2, s16, exec_lo
	s_and_not1_b32 s17, s17, exec_lo
.LBB6_119:                              ;   in Loop: Header=BB6_85 Depth=1
	s_or_b32 exec_lo, exec_lo, s21
	s_delay_alu instid0(SALU_CYCLE_1) | instskip(SKIP_1) | instid1(SALU_CYCLE_1)
	s_and_not1_b32 s1, s16, exec_lo
	s_and_b32 s2, s2, exec_lo
	s_or_b32 s16, s1, s2
	s_and_saveexec_b32 s1, s17
	s_cbranch_execz .LBB6_84
; %bb.120:                              ;   in Loop: Header=BB6_85 Depth=1
	v_add_nc_u32_e32 v18, 1, v5
	s_or_b32 s16, s16, exec_lo
	s_branch .LBB6_84
.LBB6_121:
	s_or_b32 exec_lo, exec_lo, s6
	s_delay_alu instid0(SALU_CYCLE_1) | instskip(SKIP_1) | instid1(SALU_CYCLE_1)
	s_and_not1_b32 s0, s3, exec_lo
	s_and_b32 s1, s11, exec_lo
	s_or_b32 s3, s0, s1
.LBB6_122:
	s_or_b32 exec_lo, exec_lo, s5
	v_add_nc_u32_e32 v9, 1, v4
	s_mov_b32 s1, exec_lo
	s_delay_alu instid0(VALU_DEP_1)
	v_cmpx_lt_i32_e64 v9, v16
	s_cbranch_execz .LBB6_146
; %bb.123:
	v_mul_lo_u32 v10, v4, s14
	s_mul_i32 s2, s14, s14
	v_cmp_gt_i32_e64 s0, s14, v0
	v_mul_lo_u32 v6, s2, v9
	s_cmp_lg_u32 s20, 0
	s_mov_b32 s5, 0
	s_cselect_b32 s6, -1, 0
	s_add_i32 s7, s14, 1
	v_mad_u64_u32 v[4:5], null, s14, v10, s[14:15]
	s_delay_alu instid0(VALU_DEP_2)
	v_add3_u32 v11, v6, s14, v0
	s_branch .LBB6_125
.LBB6_124:                              ;   in Loop: Header=BB6_125 Depth=1
	v_add_nc_u32_e32 v9, 1, v9
	v_add_nc_u32_e32 v11, s2, v11
	s_delay_alu instid0(VALU_DEP_2) | instskip(SKIP_1) | instid1(SALU_CYCLE_1)
	v_cmp_ge_i32_e32 vcc_lo, v9, v16
	s_or_b32 s5, vcc_lo, s5
	s_and_not1_b32 exec_lo, exec_lo, s5
	s_cbranch_execz .LBB6_146
.LBB6_125:                              ; =>This Loop Header: Depth=1
                                        ;     Child Loop BB6_128 Depth 2
                                        ;       Child Loop BB6_131 Depth 3
                                        ;         Child Loop BB6_135 Depth 4
	s_and_not1_b32 vcc_lo, exec_lo, s4
	s_cbranch_vccnz .LBB6_124
; %bb.126:                              ;   in Loop: Header=BB6_125 Depth=1
	v_mul_lo_u32 v12, v9, s14
	s_delay_alu instid0(VALU_DEP_3)
	v_dual_mov_b32 v13, v11 :: v_dual_mov_b32 v14, v4
	s_mov_b32 s10, 0
	s_branch .LBB6_128
.LBB6_127:                              ;   in Loop: Header=BB6_128 Depth=2
	s_or_b32 exec_lo, exec_lo, s16
	v_add_nc_u32_e32 v14, s7, v14
	v_add_nc_u32_e32 v13, s14, v13
	s_cmp_eq_u32 s11, s14
	s_mov_b32 s10, s11
	s_cbranch_scc1 .LBB6_124
.LBB6_128:                              ;   Parent Loop BB6_125 Depth=1
                                        ; =>  This Loop Header: Depth=2
                                        ;       Child Loop BB6_131 Depth 3
                                        ;         Child Loop BB6_135 Depth 4
	s_add_i32 s11, s10, 1
	s_and_saveexec_b32 s16, s0
	s_cbranch_execz .LBB6_127
; %bb.129:                              ;   in Loop: Header=BB6_128 Depth=2
	v_dual_mov_b32 v18, v13 :: v_dual_add_nc_u32 v5, s10, v10
	v_dual_mov_b32 v19, v0 :: v_dual_add_nc_u32 v6, s10, v12
	s_cmp_lt_i32 s11, s14
	s_delay_alu instid0(VALU_DEP_2) | instskip(SKIP_1) | instid1(VALU_DEP_2)
	v_mul_lo_u32 v15, v5, s14
	s_cselect_b32 s17, -1, 0
	v_mul_lo_u32 v17, v6, s14
	s_mov_b32 s20, 0
	s_branch .LBB6_131
.LBB6_130:                              ;   in Loop: Header=BB6_131 Depth=3
	v_add_nc_u32_e32 v19, 64, v19
	v_add_nc_u32_e32 v18, 64, v18
	s_delay_alu instid0(VALU_DEP_2) | instskip(SKIP_1) | instid1(SALU_CYCLE_1)
	v_cmp_le_i32_e32 vcc_lo, s14, v19
	s_or_b32 s20, vcc_lo, s20
	s_and_not1_b32 exec_lo, exec_lo, s20
	s_cbranch_execz .LBB6_127
.LBB6_131:                              ;   Parent Loop BB6_125 Depth=1
                                        ;     Parent Loop BB6_128 Depth=2
                                        ; =>    This Loop Header: Depth=3
                                        ;         Child Loop BB6_135 Depth 4
	s_and_not1_b32 vcc_lo, exec_lo, s17
	s_cbranch_vccnz .LBB6_130
; %bb.132:                              ;   in Loop: Header=BB6_131 Depth=3
	v_add_nc_u32_e32 v5, v19, v12
	s_delay_alu instid0(VALU_DEP_2) | instskip(SKIP_2) | instid1(VALU_DEP_2)
	v_add_nc_u32_e32 v22, v19, v17
	s_mov_b32 s21, 0
	s_mov_b32 s22, s11
	v_mul_lo_u32 v20, v5, s14
	s_delay_alu instid0(VALU_DEP_1)
	v_add_nc_u32_e32 v21, s10, v20
	s_branch .LBB6_135
.LBB6_133:                              ;   in Loop: Header=BB6_135 Depth=4
	v_mov_b32_e32 v5, v24
.LBB6_134:                              ;   in Loop: Header=BB6_135 Depth=4
	s_delay_alu instid0(VALU_DEP_1)
	v_ashrrev_i32_e32 v6, 31, v5
	s_waitcnt vmcnt(0)
	v_fma_f32 v7, -v8, v23, v7
	s_add_i32 s22, s22, 1
	s_add_i32 s21, s21, s14
	s_cmp_ge_i32 s22, s14
	v_lshlrev_b64 v[5:6], 2, v[5:6]
	s_delay_alu instid0(VALU_DEP_1) | instskip(NEXT) | instid1(VALU_DEP_2)
	v_add_co_u32 v5, vcc_lo, s8, v5
	v_add_co_ci_u32_e32 v6, vcc_lo, s9, v6, vcc_lo
	global_store_b32 v[5:6], v7, off
	s_cbranch_scc1 .LBB6_130
.LBB6_135:                              ;   Parent Loop BB6_125 Depth=1
                                        ;     Parent Loop BB6_128 Depth=2
                                        ;       Parent Loop BB6_131 Depth=3
                                        ; =>      This Inner Loop Header: Depth=4
	s_and_b32 vcc_lo, exec_lo, s6
	s_cbranch_vccz .LBB6_143
; %bb.136:                              ;   in Loop: Header=BB6_135 Depth=4
	v_add_nc_u32_e32 v5, s22, v15
	v_mov_b32_e32 v7, v21
	s_cbranch_execnz .LBB6_138
.LBB6_137:                              ;   in Loop: Header=BB6_135 Depth=4
	v_add_nc_u32_e32 v5, s21, v14
	v_mov_b32_e32 v7, v22
.LBB6_138:                              ;   in Loop: Header=BB6_135 Depth=4
	s_delay_alu instid0(VALU_DEP_2) | instskip(NEXT) | instid1(VALU_DEP_2)
	v_ashrrev_i32_e32 v6, 31, v5
	v_ashrrev_i32_e32 v8, 31, v7
	s_delay_alu instid0(VALU_DEP_2) | instskip(NEXT) | instid1(VALU_DEP_2)
	v_lshlrev_b64 v[5:6], 2, v[5:6]
	v_lshlrev_b64 v[7:8], 2, v[7:8]
	s_delay_alu instid0(VALU_DEP_2) | instskip(NEXT) | instid1(VALU_DEP_3)
	v_add_co_u32 v5, vcc_lo, s8, v5
	v_add_co_ci_u32_e32 v6, vcc_lo, s9, v6, vcc_lo
	s_delay_alu instid0(VALU_DEP_3) | instskip(NEXT) | instid1(VALU_DEP_4)
	v_add_co_u32 v23, vcc_lo, s8, v7
	v_add_co_ci_u32_e32 v24, vcc_lo, s9, v8, vcc_lo
	s_and_b32 vcc_lo, exec_lo, s6
	s_clause 0x1
	global_load_b32 v8, v[5:6], off
	global_load_b32 v23, v[23:24], off
	v_add_nc_u32_e32 v5, s22, v20
	s_cbranch_vccz .LBB6_144
; %bb.139:                              ;   in Loop: Header=BB6_135 Depth=4
	v_add_nc_u32_e32 v6, s22, v20
	v_add_nc_u32_e32 v24, s21, v18
	s_cbranch_execnz .LBB6_141
.LBB6_140:                              ;   in Loop: Header=BB6_135 Depth=4
	v_add_nc_u32_e32 v6, s21, v18
.LBB6_141:                              ;   in Loop: Header=BB6_135 Depth=4
	s_delay_alu instid0(VALU_DEP_1) | instskip(NEXT) | instid1(VALU_DEP_1)
	v_ashrrev_i32_e32 v7, 31, v6
	v_lshlrev_b64 v[6:7], 2, v[6:7]
	s_delay_alu instid0(VALU_DEP_1) | instskip(NEXT) | instid1(VALU_DEP_2)
	v_add_co_u32 v6, vcc_lo, s8, v6
	v_add_co_ci_u32_e32 v7, vcc_lo, s9, v7, vcc_lo
	s_and_b32 vcc_lo, exec_lo, s6
	global_load_b32 v7, v[6:7], off
	s_cbranch_vccz .LBB6_145
; %bb.142:                              ;   in Loop: Header=BB6_135 Depth=4
	s_cbranch_execnz .LBB6_134
	s_branch .LBB6_133
.LBB6_143:                              ;   in Loop: Header=BB6_135 Depth=4
                                        ; implicit-def: $vgpr5
	s_delay_alu instid0(VALU_DEP_1)
	v_mov_b32_e32 v7, v21
	s_branch .LBB6_137
.LBB6_144:                              ;   in Loop: Header=BB6_135 Depth=4
                                        ; implicit-def: $vgpr6
	v_add_nc_u32_e32 v24, s21, v18
	s_branch .LBB6_140
.LBB6_145:                              ;   in Loop: Header=BB6_135 Depth=4
                                        ; implicit-def: $vgpr5
	s_branch .LBB6_133
.LBB6_146:
	s_or_b32 exec_lo, exec_lo, s1
	s_delay_alu instid0(SALU_CYCLE_1)
	s_or_not1_b32 s2, s3, exec_lo
.LBB6_147:
	s_or_b32 exec_lo, exec_lo, s15
	v_cmp_eq_u32_e32 vcc_lo, 0, v0
	s_and_b32 exec_lo, exec_lo, vcc_lo
	s_cbranch_execz .LBB6_153
; %bb.148:
	v_add_co_u32 v2, vcc_lo, s12, v2
	v_add_co_ci_u32_e32 v3, vcc_lo, s13, v3, vcc_lo
	v_mov_b32_e32 v0, 1
	s_waitcnt_vscnt null, 0x0
	global_store_b32 v[2:3], v0, off
	s_and_b32 exec_lo, exec_lo, s2
	s_cbranch_execz .LBB6_153
; %bb.149:
	v_add_nc_u32_e32 v0, s24, v1
	s_mov_b32 s1, exec_lo
	s_brev_b32 s0, -2
.LBB6_150:                              ; =>This Inner Loop Header: Depth=1
	s_ctz_i32_b32 s2, s1
	s_delay_alu instid0(VALU_DEP_1) | instid1(SALU_CYCLE_1)
	v_readlane_b32 s3, v0, s2
	s_lshl_b32 s2, 1, s2
	s_delay_alu instid0(SALU_CYCLE_1) | instskip(NEXT) | instid1(VALU_DEP_1)
	s_and_not1_b32 s1, s1, s2
	s_min_i32 s0, s0, s3
	s_cmp_lg_u32 s1, 0
	s_cbranch_scc1 .LBB6_150
; %bb.151:
	v_mbcnt_lo_u32_b32 v0, exec_lo, 0
	s_mov_b32 s1, exec_lo
	s_delay_alu instid0(VALU_DEP_1)
	v_cmpx_eq_u32_e32 0, v0
	s_xor_b32 s1, exec_lo, s1
	s_cbranch_execz .LBB6_153
; %bb.152:
	v_dual_mov_b32 v0, 0 :: v_dual_mov_b32 v1, s0
	global_atomic_min_i32 v0, v1, s[18:19]
.LBB6_153:
	s_nop 0
	s_sendmsg sendmsg(MSG_DEALLOC_VGPRS)
	s_endpgm
	.section	.rodata,"a",@progbits
	.p2align	6, 0x0
	.amdhsa_kernel _ZN9rocsparseL15bsrilu0_generalILj128ELj64ELb0EfEEv20rocsparse_direction_iPKiS3_PT2_S3_iPiS3_S6_21rocsparse_index_base_imNS_24const_host_device_scalarIfEENS8_IdEENS8_IS4_EEb
		.amdhsa_group_segment_fixed_size 0
		.amdhsa_private_segment_fixed_size 0
		.amdhsa_kernarg_size 116
		.amdhsa_user_sgpr_count 15
		.amdhsa_user_sgpr_dispatch_ptr 0
		.amdhsa_user_sgpr_queue_ptr 0
		.amdhsa_user_sgpr_kernarg_segment_ptr 1
		.amdhsa_user_sgpr_dispatch_id 0
		.amdhsa_user_sgpr_private_segment_size 0
		.amdhsa_wavefront_size32 1
		.amdhsa_uses_dynamic_stack 0
		.amdhsa_enable_private_segment 0
		.amdhsa_system_sgpr_workgroup_id_x 1
		.amdhsa_system_sgpr_workgroup_id_y 0
		.amdhsa_system_sgpr_workgroup_id_z 0
		.amdhsa_system_sgpr_workgroup_info 0
		.amdhsa_system_vgpr_workitem_id 0
		.amdhsa_next_free_vgpr 34
		.amdhsa_next_free_sgpr 44
		.amdhsa_reserve_vcc 1
		.amdhsa_float_round_mode_32 0
		.amdhsa_float_round_mode_16_64 0
		.amdhsa_float_denorm_mode_32 3
		.amdhsa_float_denorm_mode_16_64 3
		.amdhsa_dx10_clamp 1
		.amdhsa_ieee_mode 1
		.amdhsa_fp16_overflow 0
		.amdhsa_workgroup_processor_mode 1
		.amdhsa_memory_ordered 1
		.amdhsa_forward_progress 0
		.amdhsa_shared_vgpr_count 0
		.amdhsa_exception_fp_ieee_invalid_op 0
		.amdhsa_exception_fp_denorm_src 0
		.amdhsa_exception_fp_ieee_div_zero 0
		.amdhsa_exception_fp_ieee_overflow 0
		.amdhsa_exception_fp_ieee_underflow 0
		.amdhsa_exception_fp_ieee_inexact 0
		.amdhsa_exception_int_div_zero 0
	.end_amdhsa_kernel
	.section	.text._ZN9rocsparseL15bsrilu0_generalILj128ELj64ELb0EfEEv20rocsparse_direction_iPKiS3_PT2_S3_iPiS3_S6_21rocsparse_index_base_imNS_24const_host_device_scalarIfEENS8_IdEENS8_IS4_EEb,"axG",@progbits,_ZN9rocsparseL15bsrilu0_generalILj128ELj64ELb0EfEEv20rocsparse_direction_iPKiS3_PT2_S3_iPiS3_S6_21rocsparse_index_base_imNS_24const_host_device_scalarIfEENS8_IdEENS8_IS4_EEb,comdat
.Lfunc_end6:
	.size	_ZN9rocsparseL15bsrilu0_generalILj128ELj64ELb0EfEEv20rocsparse_direction_iPKiS3_PT2_S3_iPiS3_S6_21rocsparse_index_base_imNS_24const_host_device_scalarIfEENS8_IdEENS8_IS4_EEb, .Lfunc_end6-_ZN9rocsparseL15bsrilu0_generalILj128ELj64ELb0EfEEv20rocsparse_direction_iPKiS3_PT2_S3_iPiS3_S6_21rocsparse_index_base_imNS_24const_host_device_scalarIfEENS8_IdEENS8_IS4_EEb
                                        ; -- End function
	.section	.AMDGPU.csdata,"",@progbits
; Kernel info:
; codeLenInByte = 4308
; NumSgprs: 46
; NumVgprs: 34
; ScratchSize: 0
; MemoryBound: 0
; FloatMode: 240
; IeeeMode: 1
; LDSByteSize: 0 bytes/workgroup (compile time only)
; SGPRBlocks: 5
; VGPRBlocks: 4
; NumSGPRsForWavesPerEU: 46
; NumVGPRsForWavesPerEU: 34
; Occupancy: 16
; WaveLimiterHint : 1
; COMPUTE_PGM_RSRC2:SCRATCH_EN: 0
; COMPUTE_PGM_RSRC2:USER_SGPR: 15
; COMPUTE_PGM_RSRC2:TRAP_HANDLER: 0
; COMPUTE_PGM_RSRC2:TGID_X_EN: 1
; COMPUTE_PGM_RSRC2:TGID_Y_EN: 0
; COMPUTE_PGM_RSRC2:TGID_Z_EN: 0
; COMPUTE_PGM_RSRC2:TIDIG_COMP_CNT: 0
	.section	.text._ZN9rocsparseL15bsrilu0_generalILj128ELj64ELb1EdEEv20rocsparse_direction_iPKiS3_PT2_S3_iPiS3_S6_21rocsparse_index_base_imNS_24const_host_device_scalarIfEENS8_IdEENS8_IS4_EEb,"axG",@progbits,_ZN9rocsparseL15bsrilu0_generalILj128ELj64ELb1EdEEv20rocsparse_direction_iPKiS3_PT2_S3_iPiS3_S6_21rocsparse_index_base_imNS_24const_host_device_scalarIfEENS8_IdEENS8_IS4_EEb,comdat
	.globl	_ZN9rocsparseL15bsrilu0_generalILj128ELj64ELb1EdEEv20rocsparse_direction_iPKiS3_PT2_S3_iPiS3_S6_21rocsparse_index_base_imNS_24const_host_device_scalarIfEENS8_IdEENS8_IS4_EEb ; -- Begin function _ZN9rocsparseL15bsrilu0_generalILj128ELj64ELb1EdEEv20rocsparse_direction_iPKiS3_PT2_S3_iPiS3_S6_21rocsparse_index_base_imNS_24const_host_device_scalarIfEENS8_IdEENS8_IS4_EEb
	.p2align	8
	.type	_ZN9rocsparseL15bsrilu0_generalILj128ELj64ELb1EdEEv20rocsparse_direction_iPKiS3_PT2_S3_iPiS3_S6_21rocsparse_index_base_imNS_24const_host_device_scalarIfEENS8_IdEENS8_IS4_EEb,@function
_ZN9rocsparseL15bsrilu0_generalILj128ELj64ELb1EdEEv20rocsparse_direction_iPKiS3_PT2_S3_iPiS3_S6_21rocsparse_index_base_imNS_24const_host_device_scalarIfEENS8_IdEENS8_IS4_EEb: ; @_ZN9rocsparseL15bsrilu0_generalILj128ELj64ELb1EdEEv20rocsparse_direction_iPKiS3_PT2_S3_iPiS3_S6_21rocsparse_index_base_imNS_24const_host_device_scalarIfEENS8_IdEENS8_IS4_EEb
; %bb.0:
	s_clause 0x2
	s_load_b32 s2, s[0:1], 0x70
	s_load_b64 s[24:25], s[0:1], 0x48
	s_load_b256 s[16:23], s[0:1], 0x50
	s_waitcnt lgkmcnt(0)
	s_bitcmp1_b32 s2, 0
	s_cselect_b32 s5, -1, 0
	s_cmp_lg_u32 s25, 0
	s_cselect_b32 s26, -1, 0
	s_cmp_eq_u32 s25, 0
	s_cselect_b32 s4, -1, 0
	s_delay_alu instid0(SALU_CYCLE_1) | instskip(SKIP_3) | instid1(SALU_CYCLE_1)
	s_and_b32 s2, s4, exec_lo
	s_cselect_b32 s2, 0, s20
	s_cselect_b32 s3, 0, s21
	s_or_b32 s5, s4, s5
	s_and_b32 vcc_lo, exec_lo, s5
	s_xor_b32 s5, s5, -1
	s_cbranch_vccnz .LBB7_2
; %bb.1:
	s_load_b32 s2, s[18:19], 0x0
	s_waitcnt lgkmcnt(0)
	v_mov_b32_e32 v26, s2
	s_mov_b64 s[2:3], s[20:21]
	s_branch .LBB7_3
.LBB7_2:
	v_cndmask_b32_e64 v26, s18, 0, s4
.LBB7_3:
	v_cndmask_b32_e64 v1, 0, 1, s5
	v_dual_mov_b32 v9, s3 :: v_dual_mov_b32 v8, s2
	s_and_not1_b32 vcc_lo, exec_lo, s5
	s_cbranch_vccnz .LBB7_5
; %bb.4:
	v_dual_mov_b32 v2, s20 :: v_dual_mov_b32 v3, s21
	flat_load_b64 v[8:9], v[2:3]
.LBB7_5:
	s_and_b32 s2, s4, exec_lo
	s_cselect_b32 s3, 0, s23
	v_cmp_ne_u32_e32 vcc_lo, 1, v1
	s_cselect_b32 s2, 0, s22
	s_delay_alu instid0(SALU_CYCLE_1)
	v_dual_mov_b32 v5, s3 :: v_dual_mov_b32 v4, s2
	s_cbranch_vccnz .LBB7_7
; %bb.6:
	v_dual_mov_b32 v1, s22 :: v_dual_mov_b32 v2, s23
	flat_load_b64 v[4:5], v[1:2]
.LBB7_7:
	s_load_b64 s[20:21], s[0:1], 0x0
	v_lshrrev_b32_e32 v1, 6, v0
	s_lshl_b32 s2, s15, 1
	s_delay_alu instid0(VALU_DEP_1) | instid1(SALU_CYCLE_1)
	v_and_or_b32 v1, 0x3fffffe, s2, v1
	s_mov_b32 s2, exec_lo
	s_waitcnt lgkmcnt(0)
	s_delay_alu instid0(VALU_DEP_1)
	v_cmpx_gt_i32_e64 s21, v1
	s_cbranch_execz .LBB7_154
; %bb.8:
	s_clause 0x1
	s_load_b128 s[12:15], s[0:1], 0x30
	s_load_b64 s[18:19], s[0:1], 0x40
	v_lshlrev_b32_e32 v1, 2, v1
	s_load_b256 s[4:11], s[0:1], 0x8
	v_and_b32_e32 v0, 63, v0
	s_mov_b32 s2, -1
	s_waitcnt lgkmcnt(0)
	global_load_b32 v1, v1, s[14:15]
	s_mov_b32 s15, exec_lo
	s_waitcnt vmcnt(0)
	v_ashrrev_i32_e32 v2, 31, v1
	s_delay_alu instid0(VALU_DEP_1) | instskip(NEXT) | instid1(VALU_DEP_1)
	v_lshlrev_b64 v[2:3], 2, v[1:2]
	v_add_co_u32 v6, vcc_lo, s10, v2
	s_delay_alu instid0(VALU_DEP_2)
	v_add_co_ci_u32_e32 v7, vcc_lo, s11, v3, vcc_lo
	global_load_b32 v6, v[6:7], off
	s_waitcnt vmcnt(0)
	v_cmpx_ne_u32_e32 -1, v6
	s_cbranch_execz .LBB7_148
; %bb.9:
	v_add_co_u32 v10, vcc_lo, s4, v2
	v_add_co_ci_u32_e32 v11, vcc_lo, s5, v3, vcc_lo
	s_load_b32 s14, s[0:1], 0x28
	s_mov_b32 s3, 0
	s_mov_b32 s22, exec_lo
	global_load_b64 v[10:11], v[10:11], off
	s_waitcnt vmcnt(0)
	v_subrev_nc_u32_e32 v10, s24, v10
	v_subrev_nc_u32_e32 v25, s24, v11
	s_delay_alu instid0(VALU_DEP_2)
	v_cmpx_lt_i32_e64 v10, v6
	s_cbranch_execz .LBB7_83
; %bb.10:
	v_add_nc_u32_e32 v12, v10, v0
	s_waitcnt lgkmcnt(0)
	v_mad_u64_u32 v[15:16], null, s14, v10, v[0:1]
	s_cmp_gt_i32 s14, 0
	v_cmp_gt_i32_e64 s0, s14, v0
	v_ashrrev_i32_e32 v13, 31, v12
	s_cselect_b32 s23, -1, 0
	s_cmp_lg_u32 s20, 0
	v_cmp_le_i32_e64 s1, s14, v0
	s_delay_alu instid0(VALU_DEP_4)
	v_mul_lo_u32 v27, s14, v15
	v_lshlrev_b64 v[13:14], 2, v[12:13]
	s_cselect_b32 s27, -1, 0
	s_add_i32 s21, s21, 1
	v_cmp_lt_i32_e64 s2, v12, v25
	s_add_u32 s28, s4, 4
	s_addc_u32 s29, s5, 0
	v_add_co_u32 v13, vcc_lo, s6, v13
	v_add_co_ci_u32_e32 v14, vcc_lo, s7, v14, vcc_lo
	s_add_u32 s30, s6, 0x100
	s_mov_b32 s25, 0
	s_addc_u32 s31, s7, 0
	s_mul_i32 s33, s14, s14
	s_lshl_b32 s34, s14, 6
	s_mov_b32 s35, 0
                                        ; implicit-def: $sgpr36
                                        ; implicit-def: $sgpr37
	s_branch .LBB7_13
.LBB7_11:                               ;   in Loop: Header=BB7_13 Depth=1
	s_or_b32 exec_lo, exec_lo, s4
	s_delay_alu instid0(SALU_CYCLE_1) | instskip(SKIP_1) | instid1(SALU_CYCLE_1)
	s_and_not1_b32 s4, s37, exec_lo
	s_and_b32 s5, s25, exec_lo
	s_or_b32 s37, s4, s5
.LBB7_12:                               ;   in Loop: Header=BB7_13 Depth=1
	s_or_b32 exec_lo, exec_lo, s38
	v_add_nc_u32_e32 v10, 1, v10
	s_xor_b32 s3, s3, -1
	v_add_nc_u32_e32 v27, s33, v27
	s_mov_b32 s25, s37
	s_delay_alu instid0(VALU_DEP_2) | instskip(SKIP_1) | instid1(SALU_CYCLE_1)
	v_cmp_ge_i32_e32 vcc_lo, v10, v6
	s_or_b32 s3, s3, vcc_lo
	s_and_b32 s3, exec_lo, s3
	s_delay_alu instid0(SALU_CYCLE_1) | instskip(SKIP_2) | instid1(SALU_CYCLE_1)
	s_or_b32 s35, s3, s35
	s_and_not1_b32 s3, s36, exec_lo
	s_and_b32 s4, s37, exec_lo
	s_or_b32 s36, s3, s4
	s_and_not1_b32 exec_lo, exec_lo, s35
	s_cbranch_execz .LBB7_82
.LBB7_13:                               ; =>This Loop Header: Depth=1
                                        ;     Child Loop BB7_17 Depth 2
                                        ;       Child Loop BB7_18 Depth 3
                                        ;     Child Loop BB7_23 Depth 2
                                        ;       Child Loop BB7_28 Depth 3
                                        ;         Child Loop BB7_38 Depth 4
                                        ;     Child Loop BB7_56 Depth 2
                                        ;       Child Loop BB7_61 Depth 3
                                        ;       Child Loop BB7_68 Depth 3
                                        ;         Child Loop BB7_71 Depth 4
                                        ;           Child Loop BB7_73 Depth 5
	v_ashrrev_i32_e32 v11, 31, v10
	s_or_b32 s37, s37, exec_lo
	s_delay_alu instid0(VALU_DEP_1) | instskip(NEXT) | instid1(VALU_DEP_1)
	v_lshlrev_b64 v[15:16], 2, v[10:11]
	v_add_co_u32 v15, vcc_lo, s6, v15
	s_delay_alu instid0(VALU_DEP_2) | instskip(SKIP_4) | instid1(VALU_DEP_1)
	v_add_co_ci_u32_e32 v16, vcc_lo, s7, v16, vcc_lo
	s_waitcnt lgkmcnt(0)
	global_load_b32 v7, v[15:16], off
	s_waitcnt vmcnt(0)
	v_subrev_nc_u32_e32 v15, s24, v7
	v_ashrrev_i32_e32 v16, 31, v15
	s_delay_alu instid0(VALU_DEP_1) | instskip(NEXT) | instid1(VALU_DEP_1)
	v_lshlrev_b64 v[15:16], 2, v[15:16]
	v_add_co_u32 v17, vcc_lo, s10, v15
	s_delay_alu instid0(VALU_DEP_2) | instskip(SKIP_3) | instid1(VALU_DEP_1)
	v_add_co_ci_u32_e32 v18, vcc_lo, s11, v16, vcc_lo
	global_load_b32 v29, v[17:18], off
	s_waitcnt vmcnt(0)
	v_cmp_ne_u32_e64 s3, -1, v29
	s_and_saveexec_b32 s38, s3
	s_cbranch_execz .LBB7_12
; %bb.14:                               ;   in Loop: Header=BB7_13 Depth=1
	v_add_co_u32 v17, vcc_lo, s28, v15
	v_add_co_ci_u32_e32 v18, vcc_lo, s29, v16, vcc_lo
	v_add_co_u32 v15, vcc_lo, s12, v15
	v_add_co_ci_u32_e32 v16, vcc_lo, s13, v16, vcc_lo
	s_mov_b32 s4, exec_lo
	global_load_b32 v30, v[17:18], off
	global_load_b32 v7, v[15:16], off glc
	s_waitcnt vmcnt(0)
	v_cmpx_eq_u32_e32 0, v7
	s_cbranch_execz .LBB7_19
; %bb.15:                               ;   in Loop: Header=BB7_13 Depth=1
	s_mov_b32 s5, 0
	s_mov_b32 s39, 0
	s_branch .LBB7_17
	.p2align	6
.LBB7_16:                               ;   in Loop: Header=BB7_17 Depth=2
	global_load_b32 v7, v[15:16], off glc
	s_cmpk_lt_u32 s39, 0xf43
	s_cselect_b32 s40, -1, 0
	s_delay_alu instid0(SALU_CYCLE_1) | instskip(SKIP_4) | instid1(SALU_CYCLE_1)
	s_cmp_lg_u32 s40, 0
	s_addc_u32 s39, s39, 0
	s_waitcnt vmcnt(0)
	v_cmp_ne_u32_e32 vcc_lo, 0, v7
	s_or_b32 s5, vcc_lo, s5
	s_and_not1_b32 exec_lo, exec_lo, s5
	s_cbranch_execz .LBB7_19
.LBB7_17:                               ;   Parent Loop BB7_13 Depth=1
                                        ; =>  This Loop Header: Depth=2
                                        ;       Child Loop BB7_18 Depth 3
	s_cmp_eq_u32 s39, 0
	s_mov_b32 s40, s39
	s_cbranch_scc1 .LBB7_16
.LBB7_18:                               ;   Parent Loop BB7_13 Depth=1
                                        ;     Parent Loop BB7_17 Depth=2
                                        ; =>    This Inner Loop Header: Depth=3
	s_add_i32 s40, s40, -1
	s_sleep 1
	s_cmp_eq_u32 s40, 0
	s_cbranch_scc0 .LBB7_18
	s_branch .LBB7_16
.LBB7_19:                               ;   in Loop: Header=BB7_13 Depth=1
	s_or_b32 exec_lo, exec_lo, s4
	v_mul_lo_u32 v28, v10, s14
	s_and_not1_b32 vcc_lo, exec_lo, s23
	buffer_gl1_inv
	buffer_gl0_inv
	s_cbranch_vccnz .LBB7_52
; %bb.20:                               ;   in Loop: Header=BB7_13 Depth=1
	v_mul_lo_u32 v31, v29, s14
	v_mov_b32_e32 v7, 0
	s_mov_b32 s39, 0
	s_branch .LBB7_23
.LBB7_21:                               ;   in Loop: Header=BB7_23 Depth=2
	s_or_b32 exec_lo, exec_lo, s41
	v_mov_b32_e32 v7, v32
.LBB7_22:                               ;   in Loop: Header=BB7_23 Depth=2
	s_or_b32 exec_lo, exec_lo, s40
	s_delay_alu instid0(VALU_DEP_1) | instskip(SKIP_1) | instid1(SALU_CYCLE_1)
	v_cmp_eq_u32_e32 vcc_lo, s14, v7
	s_or_b32 s39, vcc_lo, s39
	s_and_not1_b32 exec_lo, exec_lo, s39
	s_cbranch_execz .LBB7_51
.LBB7_23:                               ;   Parent Loop BB7_13 Depth=1
                                        ; =>  This Loop Header: Depth=2
                                        ;       Child Loop BB7_28 Depth 3
                                        ;         Child Loop BB7_38 Depth 4
	s_delay_alu instid0(VALU_DEP_1) | instskip(SKIP_1) | instid1(SALU_CYCLE_1)
	v_add_nc_u32_e32 v32, 1, v7
	s_and_saveexec_b32 s4, s1
	s_xor_b32 s4, exec_lo, s4
; %bb.24:                               ;   in Loop: Header=BB7_23 Depth=2
	v_add_nc_u32_e32 v7, 1, v7
                                        ; implicit-def: $vgpr32
; %bb.25:                               ;   in Loop: Header=BB7_23 Depth=2
	s_and_not1_saveexec_b32 s40, s4
	s_cbranch_execz .LBB7_22
; %bb.26:                               ;   in Loop: Header=BB7_23 Depth=2
	s_delay_alu instid0(VALU_DEP_1) | instskip(SKIP_3) | instid1(VALU_DEP_3)
	v_add_nc_u32_e32 v11, v7, v31
	v_cmp_gt_i32_e64 s4, s14, v32
	v_mov_b32_e32 v35, v27
	s_mov_b32 s41, 0
	v_mul_lo_u32 v33, v11, s14
	v_add_nc_u32_e32 v11, v7, v28
	s_delay_alu instid0(VALU_DEP_1) | instskip(SKIP_1) | instid1(VALU_DEP_4)
	v_mul_lo_u32 v34, v11, s14
	v_mov_b32_e32 v11, v0
	v_add_nc_u32_e32 v15, v33, v7
	s_delay_alu instid0(VALU_DEP_1) | instskip(NEXT) | instid1(VALU_DEP_1)
	v_ashrrev_i32_e32 v16, 31, v15
	v_lshlrev_b64 v[15:16], 3, v[15:16]
	s_delay_alu instid0(VALU_DEP_1) | instskip(NEXT) | instid1(VALU_DEP_2)
	v_add_co_u32 v15, vcc_lo, s8, v15
	v_add_co_ci_u32_e32 v16, vcc_lo, s9, v16, vcc_lo
	global_load_b64 v[15:16], v[15:16], off
	s_branch .LBB7_28
.LBB7_27:                               ;   in Loop: Header=BB7_28 Depth=3
	s_or_b32 exec_lo, exec_lo, s42
	v_add_nc_u32_e32 v11, 64, v11
	v_add_nc_u32_e32 v35, s34, v35
	s_delay_alu instid0(VALU_DEP_2) | instskip(SKIP_1) | instid1(SALU_CYCLE_1)
	v_cmp_le_i32_e32 vcc_lo, s14, v11
	s_or_b32 s41, vcc_lo, s41
	s_and_not1_b32 exec_lo, exec_lo, s41
	s_cbranch_execz .LBB7_21
.LBB7_28:                               ;   Parent Loop BB7_13 Depth=1
                                        ;     Parent Loop BB7_23 Depth=2
                                        ; =>    This Loop Header: Depth=3
                                        ;         Child Loop BB7_38 Depth 4
	v_add_nc_u32_e32 v19, v11, v34
	s_and_b32 vcc_lo, exec_lo, s27
	s_cbranch_vccz .LBB7_49
; %bb.29:                               ;   in Loop: Header=BB7_28 Depth=3
	v_add_nc_u32_e32 v17, v11, v34
	v_add_nc_u32_e32 v21, v11, v28
	s_cbranch_execnz .LBB7_31
.LBB7_30:                               ;   in Loop: Header=BB7_28 Depth=3
	s_delay_alu instid0(VALU_DEP_1)
	v_mad_u64_u32 v[17:18], null, v21, s14, v[7:8]
.LBB7_31:                               ;   in Loop: Header=BB7_28 Depth=3
	s_delay_alu instid0(VALU_DEP_1) | instskip(NEXT) | instid1(VALU_DEP_1)
	v_ashrrev_i32_e32 v18, 31, v17
	v_lshlrev_b64 v[17:18], 3, v[17:18]
	s_delay_alu instid0(VALU_DEP_1) | instskip(NEXT) | instid1(VALU_DEP_2)
	v_add_co_u32 v17, vcc_lo, s8, v17
	v_add_co_ci_u32_e32 v18, vcc_lo, s9, v18, vcc_lo
	s_and_b32 vcc_lo, exec_lo, s27
	global_load_b64 v[17:18], v[17:18], off
	s_cbranch_vccz .LBB7_50
; %bb.32:                               ;   in Loop: Header=BB7_28 Depth=3
	s_cbranch_execnz .LBB7_34
.LBB7_33:                               ;   in Loop: Header=BB7_28 Depth=3
	v_mad_u64_u32 v[19:20], null, v21, s14, v[7:8]
.LBB7_34:                               ;   in Loop: Header=BB7_28 Depth=3
	s_waitcnt vmcnt(0)
	v_div_scale_f64 v[20:21], null, v[15:16], v[15:16], v[17:18]
	s_delay_alu instid0(VALU_DEP_1) | instskip(SKIP_2) | instid1(VALU_DEP_1)
	v_rcp_f64_e32 v[22:23], v[20:21]
	s_waitcnt_depctr 0xfff
	v_fma_f64 v[36:37], -v[20:21], v[22:23], 1.0
	v_fma_f64 v[22:23], v[22:23], v[36:37], v[22:23]
	s_delay_alu instid0(VALU_DEP_1) | instskip(NEXT) | instid1(VALU_DEP_1)
	v_fma_f64 v[36:37], -v[20:21], v[22:23], 1.0
	v_fma_f64 v[22:23], v[22:23], v[36:37], v[22:23]
	v_div_scale_f64 v[36:37], vcc_lo, v[17:18], v[15:16], v[17:18]
	s_delay_alu instid0(VALU_DEP_1) | instskip(NEXT) | instid1(VALU_DEP_1)
	v_mul_f64 v[38:39], v[36:37], v[22:23]
	v_fma_f64 v[20:21], -v[20:21], v[38:39], v[36:37]
	s_delay_alu instid0(VALU_DEP_1) | instskip(NEXT) | instid1(VALU_DEP_1)
	v_div_fmas_f64 v[20:21], v[20:21], v[22:23], v[38:39]
	v_div_fixup_f64 v[17:18], v[20:21], v[15:16], v[17:18]
	v_ashrrev_i32_e32 v20, 31, v19
	s_delay_alu instid0(VALU_DEP_1) | instskip(NEXT) | instid1(VALU_DEP_1)
	v_lshlrev_b64 v[19:20], 3, v[19:20]
	v_add_co_u32 v19, vcc_lo, s8, v19
	s_delay_alu instid0(VALU_DEP_2)
	v_add_co_ci_u32_e32 v20, vcc_lo, s9, v20, vcc_lo
	global_store_b64 v[19:20], v[17:18], off
	s_and_saveexec_b32 s42, s4
	s_cbranch_execz .LBB7_27
; %bb.35:                               ;   in Loop: Header=BB7_28 Depth=3
	v_mov_b32_e32 v36, v32
	s_mov_b32 s43, 0
	s_branch .LBB7_38
.LBB7_36:                               ;   in Loop: Header=BB7_38 Depth=4
	v_mov_b32_e32 v21, v38
.LBB7_37:                               ;   in Loop: Header=BB7_38 Depth=4
	s_waitcnt vmcnt(0)
	v_fma_f64 v[19:20], -v[17:18], v[19:20], v[23:24]
	s_delay_alu instid0(VALU_DEP_2) | instskip(SKIP_1) | instid1(VALU_DEP_2)
	v_ashrrev_i32_e32 v22, 31, v21
	v_add_nc_u32_e32 v36, 1, v36
	v_lshlrev_b64 v[21:22], 3, v[21:22]
	s_delay_alu instid0(VALU_DEP_2) | instskip(SKIP_1) | instid1(VALU_DEP_2)
	v_cmp_le_i32_e32 vcc_lo, s14, v36
	s_or_b32 s43, vcc_lo, s43
	v_add_co_u32 v21, s5, s8, v21
	s_delay_alu instid0(VALU_DEP_1)
	v_add_co_ci_u32_e64 v22, s5, s9, v22, s5
	global_store_b64 v[21:22], v[19:20], off
	s_and_not1_b32 exec_lo, exec_lo, s43
	s_cbranch_execz .LBB7_27
.LBB7_38:                               ;   Parent Loop BB7_13 Depth=1
                                        ;     Parent Loop BB7_23 Depth=2
                                        ;       Parent Loop BB7_28 Depth=3
                                        ; =>      This Inner Loop Header: Depth=4
	s_and_b32 vcc_lo, exec_lo, s27
	s_cbranch_vccz .LBB7_46
; %bb.39:                               ;   in Loop: Header=BB7_38 Depth=4
	v_add_nc_u32_e32 v21, v36, v31
	s_delay_alu instid0(VALU_DEP_1)
	v_mad_u64_u32 v[19:20], null, v21, s14, v[7:8]
	s_cbranch_execnz .LBB7_41
.LBB7_40:                               ;   in Loop: Header=BB7_38 Depth=4
	v_add_nc_u32_e32 v19, v33, v36
.LBB7_41:                               ;   in Loop: Header=BB7_38 Depth=4
	s_delay_alu instid0(VALU_DEP_1) | instskip(SKIP_1) | instid1(VALU_DEP_2)
	v_ashrrev_i32_e32 v20, 31, v19
	v_add_nc_u32_e32 v37, v36, v28
	v_lshlrev_b64 v[19:20], 3, v[19:20]
	s_delay_alu instid0(VALU_DEP_1) | instskip(NEXT) | instid1(VALU_DEP_2)
	v_add_co_u32 v19, vcc_lo, s8, v19
	v_add_co_ci_u32_e32 v20, vcc_lo, s9, v20, vcc_lo
	s_and_b32 vcc_lo, exec_lo, s27
	global_load_b64 v[19:20], v[19:20], off
	s_cbranch_vccz .LBB7_47
; %bb.42:                               ;   in Loop: Header=BB7_38 Depth=4
	v_mad_u64_u32 v[21:22], null, v37, s14, v[11:12]
	v_add_nc_u32_e32 v38, v35, v36
	s_cbranch_execnz .LBB7_44
.LBB7_43:                               ;   in Loop: Header=BB7_38 Depth=4
	v_add_nc_u32_e32 v21, v35, v36
.LBB7_44:                               ;   in Loop: Header=BB7_38 Depth=4
	s_delay_alu instid0(VALU_DEP_1) | instskip(NEXT) | instid1(VALU_DEP_1)
	v_ashrrev_i32_e32 v22, 31, v21
	v_lshlrev_b64 v[21:22], 3, v[21:22]
	s_delay_alu instid0(VALU_DEP_1) | instskip(NEXT) | instid1(VALU_DEP_2)
	v_add_co_u32 v21, vcc_lo, s8, v21
	v_add_co_ci_u32_e32 v22, vcc_lo, s9, v22, vcc_lo
	s_and_b32 vcc_lo, exec_lo, s27
	global_load_b64 v[23:24], v[21:22], off
	s_cbranch_vccz .LBB7_48
; %bb.45:                               ;   in Loop: Header=BB7_38 Depth=4
	v_mad_u64_u32 v[21:22], null, v37, s14, v[11:12]
	s_cbranch_execnz .LBB7_37
	s_branch .LBB7_36
.LBB7_46:                               ;   in Loop: Header=BB7_38 Depth=4
                                        ; implicit-def: $vgpr19
	s_branch .LBB7_40
.LBB7_47:                               ;   in Loop: Header=BB7_38 Depth=4
                                        ; implicit-def: $vgpr21
	v_add_nc_u32_e32 v38, v35, v36
	s_branch .LBB7_43
.LBB7_48:                               ;   in Loop: Header=BB7_38 Depth=4
                                        ; implicit-def: $vgpr21
	s_branch .LBB7_36
.LBB7_49:                               ;   in Loop: Header=BB7_28 Depth=3
                                        ; implicit-def: $vgpr17
	v_add_nc_u32_e32 v21, v11, v28
	s_branch .LBB7_30
.LBB7_50:                               ;   in Loop: Header=BB7_28 Depth=3
                                        ; implicit-def: $vgpr19
	s_branch .LBB7_33
.LBB7_51:                               ;   in Loop: Header=BB7_13 Depth=1
	s_or_b32 exec_lo, exec_lo, s39
.LBB7_52:                               ;   in Loop: Header=BB7_13 Depth=1
	v_subrev_nc_u32_e32 v11, s24, v30
	v_add_nc_u32_e32 v15, 1, v29
	s_mov_b32 s4, exec_lo
	s_delay_alu instid0(VALU_DEP_1)
	v_cmpx_lt_i32_e64 v15, v11
	s_cbranch_execz .LBB7_11
; %bb.53:                               ;   in Loop: Header=BB7_13 Depth=1
	v_mul_lo_u32 v22, s33, v15
	s_mov_b32 s5, 0
	s_branch .LBB7_56
.LBB7_54:                               ;   in Loop: Header=BB7_56 Depth=2
	s_or_b32 exec_lo, exec_lo, s39
.LBB7_55:                               ;   in Loop: Header=BB7_56 Depth=2
	v_add_nc_u32_e32 v15, 1, v15
	v_add_nc_u32_e32 v22, s33, v22
	s_delay_alu instid0(VALU_DEP_2) | instskip(SKIP_1) | instid1(SALU_CYCLE_1)
	v_cmp_ge_i32_e32 vcc_lo, v15, v11
	s_or_b32 s5, vcc_lo, s5
	s_and_not1_b32 exec_lo, exec_lo, s5
	s_cbranch_execz .LBB7_11
.LBB7_56:                               ;   Parent Loop BB7_13 Depth=1
                                        ; =>  This Loop Header: Depth=2
                                        ;       Child Loop BB7_61 Depth 3
                                        ;       Child Loop BB7_68 Depth 3
                                        ;         Child Loop BB7_71 Depth 4
                                        ;           Child Loop BB7_73 Depth 5
	v_ashrrev_i32_e32 v16, 31, v15
	s_delay_alu instid0(VALU_DEP_1) | instskip(NEXT) | instid1(VALU_DEP_1)
	v_lshlrev_b64 v[16:17], 2, v[15:16]
	v_add_co_u32 v16, vcc_lo, s6, v16
	s_delay_alu instid0(VALU_DEP_2)
	v_add_co_ci_u32_e32 v17, vcc_lo, s7, v17, vcc_lo
	s_waitcnt lgkmcnt(0)
	global_load_b32 v7, v[16:17], off
	v_mov_b32_e32 v17, s21
	s_and_saveexec_b32 s39, s2
	s_cbranch_execz .LBB7_58
; %bb.57:                               ;   in Loop: Header=BB7_56 Depth=2
	global_load_b32 v16, v[13:14], off
	s_waitcnt vmcnt(0)
	v_subrev_nc_u32_e32 v17, s24, v16
.LBB7_58:                               ;   in Loop: Header=BB7_56 Depth=2
	s_or_b32 exec_lo, exec_lo, s39
	s_waitcnt vmcnt(0)
	v_subrev_nc_u32_e32 v7, s24, v7
	v_mov_b32_e32 v18, v12
	s_mov_b32 s39, exec_lo
	s_delay_alu instid0(VALU_DEP_2)
	v_cmpx_lt_i32_e64 v17, v7
	s_cbranch_execz .LBB7_64
; %bb.59:                               ;   in Loop: Header=BB7_56 Depth=2
	v_mov_b32_e32 v16, v12
	s_mov_b32 s40, 0
	s_branch .LBB7_61
	.p2align	6
.LBB7_60:                               ;   in Loop: Header=BB7_61 Depth=3
	s_or_b32 exec_lo, exec_lo, s41
	s_delay_alu instid0(VALU_DEP_1) | instskip(SKIP_2) | instid1(SALU_CYCLE_1)
	v_cmp_ge_i32_e32 vcc_lo, v17, v7
	v_mov_b32_e32 v16, v18
	s_or_b32 s40, vcc_lo, s40
	s_and_not1_b32 exec_lo, exec_lo, s40
	s_cbranch_execz .LBB7_63
.LBB7_61:                               ;   Parent Loop BB7_13 Depth=1
                                        ;     Parent Loop BB7_56 Depth=2
                                        ; =>    This Inner Loop Header: Depth=3
	s_delay_alu instid0(VALU_DEP_1) | instskip(SKIP_1) | instid1(VALU_DEP_1)
	v_dual_mov_b32 v17, s21 :: v_dual_add_nc_u32 v18, 64, v16
	s_mov_b32 s41, exec_lo
	v_cmpx_lt_i32_e64 v18, v25
	s_cbranch_execz .LBB7_60
; %bb.62:                               ;   in Loop: Header=BB7_61 Depth=3
	v_ashrrev_i32_e32 v17, 31, v16
	s_delay_alu instid0(VALU_DEP_1) | instskip(NEXT) | instid1(VALU_DEP_1)
	v_lshlrev_b64 v[16:17], 2, v[16:17]
	v_add_co_u32 v16, vcc_lo, s30, v16
	s_delay_alu instid0(VALU_DEP_2)
	v_add_co_ci_u32_e32 v17, vcc_lo, s31, v17, vcc_lo
	global_load_b32 v16, v[16:17], off
	s_waitcnt vmcnt(0)
	v_subrev_nc_u32_e32 v17, s24, v16
	s_branch .LBB7_60
.LBB7_63:                               ;   in Loop: Header=BB7_56 Depth=2
	s_or_b32 exec_lo, exec_lo, s40
.LBB7_64:                               ;   in Loop: Header=BB7_56 Depth=2
	s_delay_alu instid0(SALU_CYCLE_1)
	s_or_b32 exec_lo, exec_lo, s39
	v_cmp_eq_u32_e32 vcc_lo, v17, v7
	s_cbranch_vccz .LBB7_55
; %bb.65:                               ;   in Loop: Header=BB7_56 Depth=2
	s_ctz_i32_b32 s39, vcc_lo
	s_delay_alu instid0(SALU_CYCLE_1) | instskip(NEXT) | instid1(SALU_CYCLE_1)
	s_lshl_b32 s39, s39, 2
	v_mov_b32_e32 v7, s39
	ds_bpermute_b32 v7, v7, v18
	s_and_saveexec_b32 s39, s0
	s_cbranch_execz .LBB7_54
; %bb.66:                               ;   in Loop: Header=BB7_56 Depth=2
	v_mul_lo_u32 v23, v15, s14
	s_waitcnt lgkmcnt(0)
	v_mul_lo_u32 v24, v7, s14
	v_mov_b32_e32 v29, v27
	v_mov_b32_e32 v7, v0
	s_mov_b32 s40, 0
	s_branch .LBB7_68
.LBB7_67:                               ;   in Loop: Header=BB7_68 Depth=3
	v_add_nc_u32_e32 v7, 64, v7
	v_add_nc_u32_e32 v29, s34, v29
	s_delay_alu instid0(VALU_DEP_2) | instskip(SKIP_1) | instid1(SALU_CYCLE_1)
	v_cmp_le_i32_e32 vcc_lo, s14, v7
	s_or_b32 s40, vcc_lo, s40
	s_and_not1_b32 exec_lo, exec_lo, s40
	s_cbranch_execz .LBB7_54
.LBB7_68:                               ;   Parent Loop BB7_13 Depth=1
                                        ;     Parent Loop BB7_56 Depth=2
                                        ; =>    This Loop Header: Depth=3
                                        ;         Child Loop BB7_71 Depth 4
                                        ;           Child Loop BB7_73 Depth 5
	s_delay_alu instid0(VALU_DEP_1) | instskip(SKIP_1) | instid1(VALU_DEP_1)
	v_dual_mov_b32 v31, v22 :: v_dual_add_nc_u32 v16, v7, v24
	s_mov_b32 s41, 0
	v_mul_lo_u32 v30, v16, s14
	s_branch .LBB7_71
.LBB7_69:                               ;   in Loop: Header=BB7_71 Depth=4
	v_add_nc_u32_e32 v18, s41, v30
.LBB7_70:                               ;   in Loop: Header=BB7_71 Depth=4
	s_delay_alu instid0(VALU_DEP_1) | instskip(SKIP_2) | instid1(SALU_CYCLE_1)
	v_ashrrev_i32_e32 v19, 31, v18
	v_add_nc_u32_e32 v31, 1, v31
	s_add_i32 s41, s41, 1
	s_cmp_eq_u32 s41, s14
	s_delay_alu instid0(VALU_DEP_2) | instskip(NEXT) | instid1(VALU_DEP_1)
	v_lshlrev_b64 v[18:19], 3, v[18:19]
	v_add_co_u32 v18, vcc_lo, s8, v18
	s_delay_alu instid0(VALU_DEP_2)
	v_add_co_ci_u32_e32 v19, vcc_lo, s9, v19, vcc_lo
	global_load_b64 v[20:21], v[18:19], off
	s_waitcnt vmcnt(0)
	v_add_f64 v[16:17], v[20:21], -v[16:17]
	global_store_b64 v[18:19], v[16:17], off
	s_cbranch_scc1 .LBB7_67
.LBB7_71:                               ;   Parent Loop BB7_13 Depth=1
                                        ;     Parent Loop BB7_56 Depth=2
                                        ;       Parent Loop BB7_68 Depth=3
                                        ; =>      This Loop Header: Depth=4
                                        ;           Child Loop BB7_73 Depth 5
	s_delay_alu instid0(VALU_DEP_2) | instskip(SKIP_1) | instid1(VALU_DEP_1)
	v_dual_mov_b32 v33, v31 :: v_dual_add_nc_u32 v16, s41, v23
	s_mov_b32 s42, 0
	v_mul_lo_u32 v32, v16, s14
	v_mov_b32_e32 v16, 0
	v_mov_b32_e32 v17, 0
	s_set_inst_prefetch_distance 0x1
	s_branch .LBB7_73
	.p2align	6
.LBB7_72:                               ;   in Loop: Header=BB7_73 Depth=5
	s_delay_alu instid0(VALU_DEP_1) | instskip(SKIP_2) | instid1(SALU_CYCLE_1)
	v_ashrrev_i32_e32 v21, 31, v20
	v_add_nc_u32_e32 v33, s14, v33
	s_add_i32 s42, s42, 1
	s_cmp_eq_u32 s14, s42
	s_delay_alu instid0(VALU_DEP_2) | instskip(NEXT) | instid1(VALU_DEP_1)
	v_lshlrev_b64 v[20:21], 3, v[20:21]
	v_add_co_u32 v20, vcc_lo, s8, v20
	s_delay_alu instid0(VALU_DEP_2)
	v_add_co_ci_u32_e32 v21, vcc_lo, s9, v21, vcc_lo
	global_load_b64 v[20:21], v[20:21], off
	s_waitcnt vmcnt(0)
	v_fma_f64 v[16:17], v[18:19], v[20:21], v[16:17]
	s_cbranch_scc1 .LBB7_79
.LBB7_73:                               ;   Parent Loop BB7_13 Depth=1
                                        ;     Parent Loop BB7_56 Depth=2
                                        ;       Parent Loop BB7_68 Depth=3
                                        ;         Parent Loop BB7_71 Depth=4
                                        ; =>        This Inner Loop Header: Depth=5
	s_and_b32 vcc_lo, exec_lo, s27
	s_cbranch_vccz .LBB7_78
; %bb.74:                               ;   in Loop: Header=BB7_73 Depth=5
	v_add_nc_u32_e32 v20, s42, v28
	s_delay_alu instid0(VALU_DEP_1)
	v_mad_u64_u32 v[18:19], null, v20, s14, v[7:8]
	s_cbranch_execnz .LBB7_76
.LBB7_75:                               ;   in Loop: Header=BB7_73 Depth=5
	v_add_nc_u32_e32 v18, s42, v29
.LBB7_76:                               ;   in Loop: Header=BB7_73 Depth=5
	s_delay_alu instid0(VALU_DEP_1) | instskip(SKIP_1) | instid1(VALU_DEP_2)
	v_ashrrev_i32_e32 v19, 31, v18
	v_mov_b32_e32 v20, v33
	v_lshlrev_b64 v[18:19], 3, v[18:19]
	s_delay_alu instid0(VALU_DEP_1) | instskip(NEXT) | instid1(VALU_DEP_2)
	v_add_co_u32 v18, vcc_lo, s8, v18
	v_add_co_ci_u32_e32 v19, vcc_lo, s9, v19, vcc_lo
	s_and_not1_b32 vcc_lo, exec_lo, s27
	global_load_b64 v[18:19], v[18:19], off
	s_cbranch_vccnz .LBB7_72
; %bb.77:                               ;   in Loop: Header=BB7_73 Depth=5
	v_add_nc_u32_e32 v20, s42, v32
	s_branch .LBB7_72
	.p2align	6
.LBB7_78:                               ;   in Loop: Header=BB7_73 Depth=5
                                        ; implicit-def: $vgpr18
	s_branch .LBB7_75
.LBB7_79:                               ;   in Loop: Header=BB7_71 Depth=4
	s_set_inst_prefetch_distance 0x2
	s_and_b32 vcc_lo, exec_lo, s27
	s_cbranch_vccz .LBB7_81
; %bb.80:                               ;   in Loop: Header=BB7_71 Depth=4
	v_add_nc_u32_e32 v20, s41, v24
	s_delay_alu instid0(VALU_DEP_1)
	v_mad_u64_u32 v[18:19], null, v20, s14, v[7:8]
	s_cbranch_execnz .LBB7_70
	s_branch .LBB7_69
.LBB7_81:                               ;   in Loop: Header=BB7_71 Depth=4
                                        ; implicit-def: $vgpr18
	s_branch .LBB7_69
.LBB7_82:
	s_or_b32 exec_lo, exec_lo, s35
	s_delay_alu instid0(SALU_CYCLE_1)
	s_and_b32 s3, s36, exec_lo
.LBB7_83:
	s_or_b32 exec_lo, exec_lo, s22
	s_waitcnt lgkmcnt(0)
	v_ashrrev_i32_e32 v7, 31, v6
	s_cmp_gt_i32 s14, 0
	s_cselect_b32 s4, -1, 0
	s_delay_alu instid0(VALU_DEP_1) | instskip(NEXT) | instid1(VALU_DEP_1)
	v_lshlrev_b64 v[10:11], 2, v[6:7]
	v_add_co_u32 v10, vcc_lo, s6, v10
	s_delay_alu instid0(VALU_DEP_2) | instskip(SKIP_4) | instid1(VALU_DEP_1)
	v_add_co_ci_u32_e32 v11, vcc_lo, s7, v11, vcc_lo
	s_mov_b32 s6, 0
	global_load_b32 v7, v[10:11], off
	s_waitcnt vmcnt(0)
	v_subrev_nc_u32_e32 v7, s24, v7
	v_cmp_eq_u32_e32 vcc_lo, v7, v1
	s_and_b32 s0, s4, vcc_lo
	s_delay_alu instid0(SALU_CYCLE_1)
	s_and_saveexec_b32 s5, s0
	s_cbranch_execz .LBB7_123
; %bb.84:
	v_cvt_f64_f32_e32 v[10:11], v26
	v_mul_lo_u32 v21, v6, s14
	s_cmp_eq_u64 s[16:17], 8
	v_cmp_eq_u32_e64 s0, 0, v0
	s_cselect_b32 vcc_lo, -1, 0
	v_mov_b32_e32 v7, 0
	s_cmp_lg_u32 s20, 0
	s_mov_b32 s16, s3
	s_cselect_b32 s7, -1, 0
	v_add3_u32 v22, v21, v0, 1
	s_lshl_b32 s10, s14, 6
                                        ; implicit-def: $sgpr11
	v_dual_cndmask_b32 v8, v10, v8 :: v_dual_cndmask_b32 v9, v11, v9
	s_branch .LBB7_86
.LBB7_85:                               ;   in Loop: Header=BB7_86 Depth=1
	s_or_b32 exec_lo, exec_lo, s1
	s_delay_alu instid0(VALU_DEP_1) | instskip(SKIP_4) | instid1(SALU_CYCLE_1)
	v_cmp_eq_u32_e32 vcc_lo, s14, v24
	v_mov_b32_e32 v7, v24
	s_or_b32 s6, vcc_lo, s6
	s_and_not1_b32 s1, s11, exec_lo
	s_and_b32 s2, s16, exec_lo
	s_or_b32 s11, s1, s2
	s_and_not1_b32 exec_lo, exec_lo, s6
	s_cbranch_execz .LBB7_122
.LBB7_86:                               ; =>This Loop Header: Depth=1
                                        ;     Child Loop BB7_96 Depth 2
                                        ;       Child Loop BB7_106 Depth 3
	v_add_nc_u32_e32 v10, v7, v21
	s_mov_b32 s17, 0
	s_delay_alu instid0(VALU_DEP_1) | instskip(NEXT) | instid1(VALU_DEP_1)
	v_mul_lo_u32 v23, v10, s14
	v_add_nc_u32_e32 v10, v23, v7
	s_delay_alu instid0(VALU_DEP_1) | instskip(NEXT) | instid1(VALU_DEP_1)
	v_ashrrev_i32_e32 v11, 31, v10
	v_lshlrev_b64 v[10:11], 3, v[10:11]
	s_delay_alu instid0(VALU_DEP_1) | instskip(NEXT) | instid1(VALU_DEP_2)
	v_add_co_u32 v14, vcc_lo, s8, v10
	v_add_co_ci_u32_e32 v15, vcc_lo, s9, v11, vcc_lo
	s_and_not1_b32 vcc_lo, exec_lo, s26
	global_load_b64 v[10:11], v[14:15], off
	s_cbranch_vccnz .LBB7_91
; %bb.87:                               ;   in Loop: Header=BB7_86 Depth=1
	s_waitcnt vmcnt(0)
	v_cmp_gt_f64_e32 vcc_lo, 0, v[10:11]
	v_xor_b32_e32 v12, 0x80000000, v11
	s_delay_alu instid0(VALU_DEP_1) | instskip(NEXT) | instid1(VALU_DEP_1)
	v_dual_cndmask_b32 v13, v11, v12 :: v_dual_cndmask_b32 v12, v10, v10
	v_cmp_le_f64_e32 vcc_lo, v[12:13], v[8:9]
	v_dual_cndmask_b32 v13, v11, v5 :: v_dual_cndmask_b32 v12, v10, v4
	s_and_saveexec_b32 s1, s0
	s_cbranch_execz .LBB7_89
; %bb.88:                               ;   in Loop: Header=BB7_86 Depth=1
	global_store_b64 v[14:15], v[12:13], off
.LBB7_89:                               ;   in Loop: Header=BB7_86 Depth=1
	s_or_b32 exec_lo, exec_lo, s1
	s_mov_b32 s1, -1
	s_cbranch_execz .LBB7_92
; %bb.90:                               ;   in Loop: Header=BB7_86 Depth=1
	s_waitcnt vmcnt(0)
	v_dual_mov_b32 v10, v12 :: v_dual_mov_b32 v11, v13
                                        ; implicit-def: $sgpr2
                                        ; implicit-def: $vgpr24
	s_and_saveexec_b32 s21, s1
	s_delay_alu instid0(SALU_CYCLE_1)
	s_xor_b32 s21, exec_lo, s21
	s_cbranch_execz .LBB7_120
	s_branch .LBB7_93
.LBB7_91:                               ;   in Loop: Header=BB7_86 Depth=1
	s_mov_b32 s1, 0
                                        ; implicit-def: $vgpr12_vgpr13
.LBB7_92:                               ;   in Loop: Header=BB7_86 Depth=1
	s_waitcnt vmcnt(0)
	v_cmp_neq_f64_e32 vcc_lo, 0, v[10:11]
	s_and_not1_b32 s1, s1, exec_lo
	s_mov_b32 s17, -1
	s_and_b32 s2, vcc_lo, exec_lo
	s_delay_alu instid0(SALU_CYCLE_1) | instskip(NEXT) | instid1(SALU_CYCLE_1)
	s_or_b32 s1, s1, s2
                                        ; implicit-def: $sgpr2
                                        ; implicit-def: $vgpr24
	s_and_saveexec_b32 s21, s1
	s_delay_alu instid0(SALU_CYCLE_1)
	s_xor_b32 s21, exec_lo, s21
	s_cbranch_execz .LBB7_120
.LBB7_93:                               ;   in Loop: Header=BB7_86 Depth=1
	v_add_nc_u32_e32 v24, 1, v7
	s_mov_b32 s22, exec_lo
	s_delay_alu instid0(VALU_DEP_1) | instskip(NEXT) | instid1(VALU_DEP_1)
	v_add_nc_u32_e32 v12, v24, v0
	v_cmpx_gt_i32_e64 s14, v12
	s_cbranch_execz .LBB7_119
; %bb.94:                               ;   in Loop: Header=BB7_86 Depth=1
	v_add_nc_u32_e32 v13, v22, v7
	v_cmp_gt_i32_e64 s1, s14, v24
	s_mov_b32 s23, 0
	s_delay_alu instid0(VALU_DEP_2)
	v_mul_lo_u32 v26, s14, v13
	s_branch .LBB7_96
.LBB7_95:                               ;   in Loop: Header=BB7_96 Depth=2
	s_or_b32 exec_lo, exec_lo, s25
	v_add_nc_u32_e32 v12, 64, v12
	v_add_nc_u32_e32 v26, s10, v26
	s_delay_alu instid0(VALU_DEP_2) | instskip(SKIP_1) | instid1(SALU_CYCLE_1)
	v_cmp_le_i32_e32 vcc_lo, s14, v12
	s_or_b32 s23, vcc_lo, s23
	s_and_not1_b32 exec_lo, exec_lo, s23
	s_cbranch_execz .LBB7_119
.LBB7_96:                               ;   Parent Loop BB7_86 Depth=1
                                        ; =>  This Loop Header: Depth=2
                                        ;       Child Loop BB7_106 Depth 3
	v_add_nc_u32_e32 v15, v12, v23
	s_and_b32 vcc_lo, exec_lo, s7
	s_cbranch_vccz .LBB7_117
; %bb.97:                               ;   in Loop: Header=BB7_96 Depth=2
	v_add_nc_u32_e32 v13, v12, v23
	s_cbranch_execnz .LBB7_99
.LBB7_98:                               ;   in Loop: Header=BB7_96 Depth=2
	v_add_nc_u32_e32 v16, v12, v21
	s_delay_alu instid0(VALU_DEP_1)
	v_mad_u64_u32 v[13:14], null, v16, s14, v[7:8]
.LBB7_99:                               ;   in Loop: Header=BB7_96 Depth=2
	s_delay_alu instid0(VALU_DEP_1) | instskip(NEXT) | instid1(VALU_DEP_1)
	v_ashrrev_i32_e32 v14, 31, v13
	v_lshlrev_b64 v[13:14], 3, v[13:14]
	s_delay_alu instid0(VALU_DEP_1) | instskip(NEXT) | instid1(VALU_DEP_2)
	v_add_co_u32 v13, vcc_lo, s8, v13
	v_add_co_ci_u32_e32 v14, vcc_lo, s9, v14, vcc_lo
	s_and_b32 vcc_lo, exec_lo, s7
	global_load_b64 v[13:14], v[13:14], off
	s_cbranch_vccz .LBB7_118
; %bb.100:                              ;   in Loop: Header=BB7_96 Depth=2
	s_cbranch_execnz .LBB7_102
.LBB7_101:                              ;   in Loop: Header=BB7_96 Depth=2
	v_add_nc_u32_e32 v17, v12, v21
	s_delay_alu instid0(VALU_DEP_1)
	v_mad_u64_u32 v[15:16], null, v17, s14, v[7:8]
.LBB7_102:                              ;   in Loop: Header=BB7_96 Depth=2
	s_waitcnt vmcnt(0)
	v_div_scale_f64 v[16:17], null, v[10:11], v[10:11], v[13:14]
	s_delay_alu instid0(VALU_DEP_1) | instskip(SKIP_2) | instid1(VALU_DEP_1)
	v_rcp_f64_e32 v[18:19], v[16:17]
	s_waitcnt_depctr 0xfff
	v_fma_f64 v[27:28], -v[16:17], v[18:19], 1.0
	v_fma_f64 v[18:19], v[18:19], v[27:28], v[18:19]
	s_delay_alu instid0(VALU_DEP_1) | instskip(NEXT) | instid1(VALU_DEP_1)
	v_fma_f64 v[27:28], -v[16:17], v[18:19], 1.0
	v_fma_f64 v[18:19], v[18:19], v[27:28], v[18:19]
	v_div_scale_f64 v[27:28], vcc_lo, v[13:14], v[10:11], v[13:14]
	s_delay_alu instid0(VALU_DEP_1) | instskip(NEXT) | instid1(VALU_DEP_1)
	v_mul_f64 v[29:30], v[27:28], v[18:19]
	v_fma_f64 v[16:17], -v[16:17], v[29:30], v[27:28]
	s_delay_alu instid0(VALU_DEP_1) | instskip(NEXT) | instid1(VALU_DEP_1)
	v_div_fmas_f64 v[16:17], v[16:17], v[18:19], v[29:30]
	v_div_fixup_f64 v[13:14], v[16:17], v[10:11], v[13:14]
	v_ashrrev_i32_e32 v16, 31, v15
	s_delay_alu instid0(VALU_DEP_1) | instskip(NEXT) | instid1(VALU_DEP_1)
	v_lshlrev_b64 v[15:16], 3, v[15:16]
	v_add_co_u32 v15, vcc_lo, s8, v15
	s_delay_alu instid0(VALU_DEP_2)
	v_add_co_ci_u32_e32 v16, vcc_lo, s9, v16, vcc_lo
	global_store_b64 v[15:16], v[13:14], off
	s_and_saveexec_b32 s25, s1
	s_cbranch_execz .LBB7_95
; %bb.103:                              ;   in Loop: Header=BB7_96 Depth=2
	v_mov_b32_e32 v27, v24
	s_mov_b32 s27, 0
	s_branch .LBB7_106
.LBB7_104:                              ;   in Loop: Header=BB7_106 Depth=3
	v_add_nc_u32_e32 v17, v26, v27
.LBB7_105:                              ;   in Loop: Header=BB7_106 Depth=3
	s_waitcnt vmcnt(0)
	v_fma_f64 v[15:16], -v[13:14], v[15:16], v[19:20]
	s_delay_alu instid0(VALU_DEP_2) | instskip(SKIP_1) | instid1(VALU_DEP_2)
	v_ashrrev_i32_e32 v18, 31, v17
	v_add_nc_u32_e32 v27, 1, v27
	v_lshlrev_b64 v[17:18], 3, v[17:18]
	s_delay_alu instid0(VALU_DEP_2) | instskip(SKIP_1) | instid1(VALU_DEP_2)
	v_cmp_le_i32_e32 vcc_lo, s14, v27
	s_or_b32 s27, vcc_lo, s27
	v_add_co_u32 v17, s2, s8, v17
	s_delay_alu instid0(VALU_DEP_1)
	v_add_co_ci_u32_e64 v18, s2, s9, v18, s2
	global_store_b64 v[17:18], v[15:16], off
	s_and_not1_b32 exec_lo, exec_lo, s27
	s_cbranch_execz .LBB7_95
.LBB7_106:                              ;   Parent Loop BB7_86 Depth=1
                                        ;     Parent Loop BB7_96 Depth=2
                                        ; =>    This Inner Loop Header: Depth=3
	s_delay_alu instid0(VALU_DEP_1)
	v_add_nc_u32_e32 v28, v27, v21
	s_and_b32 vcc_lo, exec_lo, s7
	s_cbranch_vccz .LBB7_114
; %bb.107:                              ;   in Loop: Header=BB7_106 Depth=3
	s_delay_alu instid0(VALU_DEP_1)
	v_mad_u64_u32 v[15:16], null, v28, s14, v[7:8]
	s_cbranch_execnz .LBB7_109
.LBB7_108:                              ;   in Loop: Header=BB7_106 Depth=3
	v_add_nc_u32_e32 v15, v23, v27
.LBB7_109:                              ;   in Loop: Header=BB7_106 Depth=3
	s_delay_alu instid0(VALU_DEP_1) | instskip(NEXT) | instid1(VALU_DEP_1)
	v_ashrrev_i32_e32 v16, 31, v15
	v_lshlrev_b64 v[15:16], 3, v[15:16]
	s_delay_alu instid0(VALU_DEP_1) | instskip(NEXT) | instid1(VALU_DEP_2)
	v_add_co_u32 v15, vcc_lo, s8, v15
	v_add_co_ci_u32_e32 v16, vcc_lo, s9, v16, vcc_lo
	s_and_b32 vcc_lo, exec_lo, s7
	global_load_b64 v[15:16], v[15:16], off
	s_cbranch_vccz .LBB7_115
; %bb.110:                              ;   in Loop: Header=BB7_106 Depth=3
	v_mad_u64_u32 v[17:18], null, v28, s14, v[12:13]
	s_cbranch_execnz .LBB7_112
.LBB7_111:                              ;   in Loop: Header=BB7_106 Depth=3
	v_add_nc_u32_e32 v17, v26, v27
.LBB7_112:                              ;   in Loop: Header=BB7_106 Depth=3
	s_delay_alu instid0(VALU_DEP_1) | instskip(NEXT) | instid1(VALU_DEP_1)
	v_ashrrev_i32_e32 v18, 31, v17
	v_lshlrev_b64 v[17:18], 3, v[17:18]
	s_delay_alu instid0(VALU_DEP_1) | instskip(NEXT) | instid1(VALU_DEP_2)
	v_add_co_u32 v17, vcc_lo, s8, v17
	v_add_co_ci_u32_e32 v18, vcc_lo, s9, v18, vcc_lo
	s_and_b32 vcc_lo, exec_lo, s7
	global_load_b64 v[19:20], v[17:18], off
	s_cbranch_vccz .LBB7_116
; %bb.113:                              ;   in Loop: Header=BB7_106 Depth=3
	v_mad_u64_u32 v[17:18], null, v28, s14, v[12:13]
	s_cbranch_execnz .LBB7_105
	s_branch .LBB7_104
.LBB7_114:                              ;   in Loop: Header=BB7_106 Depth=3
                                        ; implicit-def: $vgpr15
	s_branch .LBB7_108
.LBB7_115:                              ;   in Loop: Header=BB7_106 Depth=3
                                        ; implicit-def: $vgpr17
	s_branch .LBB7_111
.LBB7_116:                              ;   in Loop: Header=BB7_106 Depth=3
                                        ; implicit-def: $vgpr17
	s_branch .LBB7_104
.LBB7_117:                              ;   in Loop: Header=BB7_96 Depth=2
                                        ; implicit-def: $vgpr13
	s_branch .LBB7_98
.LBB7_118:                              ;   in Loop: Header=BB7_96 Depth=2
                                        ; implicit-def: $vgpr15
	s_branch .LBB7_101
.LBB7_119:                              ;   in Loop: Header=BB7_86 Depth=1
	s_or_b32 exec_lo, exec_lo, s22
	s_delay_alu instid0(SALU_CYCLE_1)
	s_and_b32 s2, s16, exec_lo
	s_and_not1_b32 s17, s17, exec_lo
.LBB7_120:                              ;   in Loop: Header=BB7_86 Depth=1
	s_or_b32 exec_lo, exec_lo, s21
	s_delay_alu instid0(SALU_CYCLE_1) | instskip(SKIP_1) | instid1(SALU_CYCLE_1)
	s_and_not1_b32 s1, s16, exec_lo
	s_and_b32 s2, s2, exec_lo
	s_or_b32 s16, s1, s2
	s_and_saveexec_b32 s1, s17
	s_cbranch_execz .LBB7_85
; %bb.121:                              ;   in Loop: Header=BB7_86 Depth=1
	v_add_nc_u32_e32 v24, 1, v7
	s_or_b32 s16, s16, exec_lo
	s_branch .LBB7_85
.LBB7_122:
	s_or_b32 exec_lo, exec_lo, s6
	s_delay_alu instid0(SALU_CYCLE_1) | instskip(SKIP_1) | instid1(SALU_CYCLE_1)
	s_and_not1_b32 s0, s3, exec_lo
	s_and_b32 s1, s11, exec_lo
	s_or_b32 s3, s0, s1
.LBB7_123:
	s_or_b32 exec_lo, exec_lo, s5
	v_add_nc_u32_e32 v12, 1, v6
	s_mov_b32 s1, exec_lo
	s_delay_alu instid0(VALU_DEP_1)
	v_cmpx_lt_i32_e64 v12, v25
	s_cbranch_execz .LBB7_147
; %bb.124:
	v_mul_lo_u32 v13, v6, s14
	s_mul_i32 s2, s14, s14
	v_cmp_gt_i32_e64 s0, s14, v0
	v_mul_lo_u32 v6, s2, v12
	s_cmp_lg_u32 s20, 0
	s_mov_b32 s5, 0
	s_cselect_b32 s6, -1, 0
	s_add_i32 s7, s14, 1
	v_mad_u64_u32 v[4:5], null, s14, v13, s[14:15]
	s_delay_alu instid0(VALU_DEP_2)
	v_add3_u32 v14, v6, s14, v0
	s_branch .LBB7_126
.LBB7_125:                              ;   in Loop: Header=BB7_126 Depth=1
	v_add_nc_u32_e32 v12, 1, v12
	v_add_nc_u32_e32 v14, s2, v14
	s_delay_alu instid0(VALU_DEP_2) | instskip(SKIP_1) | instid1(SALU_CYCLE_1)
	v_cmp_ge_i32_e32 vcc_lo, v12, v25
	s_or_b32 s5, vcc_lo, s5
	s_and_not1_b32 exec_lo, exec_lo, s5
	s_cbranch_execz .LBB7_147
.LBB7_126:                              ; =>This Loop Header: Depth=1
                                        ;     Child Loop BB7_129 Depth 2
                                        ;       Child Loop BB7_132 Depth 3
                                        ;         Child Loop BB7_136 Depth 4
	s_and_not1_b32 vcc_lo, exec_lo, s4
	s_cbranch_vccnz .LBB7_125
; %bb.127:                              ;   in Loop: Header=BB7_126 Depth=1
	v_mul_lo_u32 v15, v12, s14
	s_delay_alu instid0(VALU_DEP_3)
	v_dual_mov_b32 v16, v14 :: v_dual_mov_b32 v17, v4
	s_mov_b32 s10, 0
	s_branch .LBB7_129
.LBB7_128:                              ;   in Loop: Header=BB7_129 Depth=2
	s_or_b32 exec_lo, exec_lo, s16
	v_add_nc_u32_e32 v17, s7, v17
	v_add_nc_u32_e32 v16, s14, v16
	s_cmp_eq_u32 s11, s14
	s_mov_b32 s10, s11
	s_cbranch_scc1 .LBB7_125
.LBB7_129:                              ;   Parent Loop BB7_126 Depth=1
                                        ; =>  This Loop Header: Depth=2
                                        ;       Child Loop BB7_132 Depth 3
                                        ;         Child Loop BB7_136 Depth 4
	s_add_i32 s11, s10, 1
	s_and_saveexec_b32 s16, s0
	s_cbranch_execz .LBB7_128
; %bb.130:                              ;   in Loop: Header=BB7_129 Depth=2
	v_dual_mov_b32 v20, v16 :: v_dual_add_nc_u32 v5, s10, v13
	v_dual_mov_b32 v21, v0 :: v_dual_add_nc_u32 v6, s10, v15
	s_cmp_lt_i32 s11, s14
	s_delay_alu instid0(VALU_DEP_2) | instskip(SKIP_1) | instid1(VALU_DEP_2)
	v_mul_lo_u32 v18, v5, s14
	s_cselect_b32 s17, -1, 0
	v_mul_lo_u32 v19, v6, s14
	s_mov_b32 s20, 0
	s_branch .LBB7_132
.LBB7_131:                              ;   in Loop: Header=BB7_132 Depth=3
	v_add_nc_u32_e32 v21, 64, v21
	v_add_nc_u32_e32 v20, 64, v20
	s_delay_alu instid0(VALU_DEP_2) | instskip(SKIP_1) | instid1(SALU_CYCLE_1)
	v_cmp_le_i32_e32 vcc_lo, s14, v21
	s_or_b32 s20, vcc_lo, s20
	s_and_not1_b32 exec_lo, exec_lo, s20
	s_cbranch_execz .LBB7_128
.LBB7_132:                              ;   Parent Loop BB7_126 Depth=1
                                        ;     Parent Loop BB7_129 Depth=2
                                        ; =>    This Loop Header: Depth=3
                                        ;         Child Loop BB7_136 Depth 4
	s_and_not1_b32 vcc_lo, exec_lo, s17
	s_cbranch_vccnz .LBB7_131
; %bb.133:                              ;   in Loop: Header=BB7_132 Depth=3
	v_add_nc_u32_e32 v5, v21, v15
	s_delay_alu instid0(VALU_DEP_2) | instskip(SKIP_2) | instid1(VALU_DEP_2)
	v_add_nc_u32_e32 v24, v21, v19
	s_mov_b32 s21, 0
	s_mov_b32 s22, s11
	v_mul_lo_u32 v22, v5, s14
	s_delay_alu instid0(VALU_DEP_1)
	v_add_nc_u32_e32 v23, s10, v22
	s_branch .LBB7_136
.LBB7_134:                              ;   in Loop: Header=BB7_136 Depth=4
	v_mov_b32_e32 v9, v26
.LBB7_135:                              ;   in Loop: Header=BB7_136 Depth=4
	s_waitcnt vmcnt(0)
	v_fma_f64 v[5:6], -v[5:6], v[7:8], v[10:11]
	s_delay_alu instid0(VALU_DEP_2) | instskip(SKIP_3) | instid1(VALU_DEP_1)
	v_ashrrev_i32_e32 v10, 31, v9
	s_add_i32 s22, s22, 1
	s_add_i32 s21, s21, s14
	s_cmp_ge_i32 s22, s14
	v_lshlrev_b64 v[7:8], 3, v[9:10]
	s_delay_alu instid0(VALU_DEP_1) | instskip(NEXT) | instid1(VALU_DEP_2)
	v_add_co_u32 v7, vcc_lo, s8, v7
	v_add_co_ci_u32_e32 v8, vcc_lo, s9, v8, vcc_lo
	global_store_b64 v[7:8], v[5:6], off
	s_cbranch_scc1 .LBB7_131
.LBB7_136:                              ;   Parent Loop BB7_126 Depth=1
                                        ;     Parent Loop BB7_129 Depth=2
                                        ;       Parent Loop BB7_132 Depth=3
                                        ; =>      This Inner Loop Header: Depth=4
	s_and_b32 vcc_lo, exec_lo, s6
	s_cbranch_vccz .LBB7_144
; %bb.137:                              ;   in Loop: Header=BB7_136 Depth=4
	v_add_nc_u32_e32 v5, s22, v18
	v_mov_b32_e32 v7, v23
	s_cbranch_execnz .LBB7_139
.LBB7_138:                              ;   in Loop: Header=BB7_136 Depth=4
	v_add_nc_u32_e32 v5, s21, v17
	v_mov_b32_e32 v7, v24
.LBB7_139:                              ;   in Loop: Header=BB7_136 Depth=4
	s_delay_alu instid0(VALU_DEP_2) | instskip(NEXT) | instid1(VALU_DEP_2)
	v_ashrrev_i32_e32 v6, 31, v5
	v_ashrrev_i32_e32 v8, 31, v7
	v_add_nc_u32_e32 v9, s22, v22
	s_delay_alu instid0(VALU_DEP_3) | instskip(NEXT) | instid1(VALU_DEP_3)
	v_lshlrev_b64 v[5:6], 3, v[5:6]
	v_lshlrev_b64 v[7:8], 3, v[7:8]
	s_delay_alu instid0(VALU_DEP_2) | instskip(NEXT) | instid1(VALU_DEP_3)
	v_add_co_u32 v5, vcc_lo, s8, v5
	v_add_co_ci_u32_e32 v6, vcc_lo, s9, v6, vcc_lo
	s_delay_alu instid0(VALU_DEP_3) | instskip(NEXT) | instid1(VALU_DEP_4)
	v_add_co_u32 v7, vcc_lo, s8, v7
	v_add_co_ci_u32_e32 v8, vcc_lo, s9, v8, vcc_lo
	s_and_b32 vcc_lo, exec_lo, s6
	s_clause 0x1
	global_load_b64 v[5:6], v[5:6], off
	global_load_b64 v[7:8], v[7:8], off
	s_cbranch_vccz .LBB7_145
; %bb.140:                              ;   in Loop: Header=BB7_136 Depth=4
	v_add_nc_u32_e32 v10, s22, v22
	v_add_nc_u32_e32 v26, s21, v20
	s_cbranch_execnz .LBB7_142
.LBB7_141:                              ;   in Loop: Header=BB7_136 Depth=4
	v_add_nc_u32_e32 v10, s21, v20
.LBB7_142:                              ;   in Loop: Header=BB7_136 Depth=4
	s_delay_alu instid0(VALU_DEP_1) | instskip(NEXT) | instid1(VALU_DEP_1)
	v_ashrrev_i32_e32 v11, 31, v10
	v_lshlrev_b64 v[10:11], 3, v[10:11]
	s_delay_alu instid0(VALU_DEP_1) | instskip(NEXT) | instid1(VALU_DEP_2)
	v_add_co_u32 v10, vcc_lo, s8, v10
	v_add_co_ci_u32_e32 v11, vcc_lo, s9, v11, vcc_lo
	s_and_b32 vcc_lo, exec_lo, s6
	global_load_b64 v[10:11], v[10:11], off
	s_cbranch_vccz .LBB7_146
; %bb.143:                              ;   in Loop: Header=BB7_136 Depth=4
	s_cbranch_execnz .LBB7_135
	s_branch .LBB7_134
.LBB7_144:                              ;   in Loop: Header=BB7_136 Depth=4
                                        ; implicit-def: $vgpr5
	s_delay_alu instid0(VALU_DEP_1)
	v_mov_b32_e32 v7, v23
	s_branch .LBB7_138
.LBB7_145:                              ;   in Loop: Header=BB7_136 Depth=4
                                        ; implicit-def: $vgpr10
	v_add_nc_u32_e32 v26, s21, v20
	s_branch .LBB7_141
.LBB7_146:                              ;   in Loop: Header=BB7_136 Depth=4
                                        ; implicit-def: $vgpr9
	s_branch .LBB7_134
.LBB7_147:
	s_or_b32 exec_lo, exec_lo, s1
	s_delay_alu instid0(SALU_CYCLE_1)
	s_or_not1_b32 s2, s3, exec_lo
.LBB7_148:
	s_or_b32 exec_lo, exec_lo, s15
	v_cmp_eq_u32_e32 vcc_lo, 0, v0
	s_and_b32 exec_lo, exec_lo, vcc_lo
	s_cbranch_execz .LBB7_154
; %bb.149:
	v_add_co_u32 v2, vcc_lo, s12, v2
	v_add_co_ci_u32_e32 v3, vcc_lo, s13, v3, vcc_lo
	v_mov_b32_e32 v0, 1
	s_waitcnt_vscnt null, 0x0
	global_store_b32 v[2:3], v0, off
	s_and_b32 exec_lo, exec_lo, s2
	s_cbranch_execz .LBB7_154
; %bb.150:
	v_add_nc_u32_e32 v0, s24, v1
	s_mov_b32 s1, exec_lo
	s_brev_b32 s0, -2
.LBB7_151:                              ; =>This Inner Loop Header: Depth=1
	s_ctz_i32_b32 s2, s1
	s_delay_alu instid0(VALU_DEP_1) | instid1(SALU_CYCLE_1)
	v_readlane_b32 s3, v0, s2
	s_lshl_b32 s2, 1, s2
	s_delay_alu instid0(SALU_CYCLE_1) | instskip(NEXT) | instid1(VALU_DEP_1)
	s_and_not1_b32 s1, s1, s2
	s_min_i32 s0, s0, s3
	s_cmp_lg_u32 s1, 0
	s_cbranch_scc1 .LBB7_151
; %bb.152:
	v_mbcnt_lo_u32_b32 v0, exec_lo, 0
	s_mov_b32 s1, exec_lo
	s_delay_alu instid0(VALU_DEP_1)
	v_cmpx_eq_u32_e32 0, v0
	s_xor_b32 s1, exec_lo, s1
	s_cbranch_execz .LBB7_154
; %bb.153:
	v_dual_mov_b32 v0, 0 :: v_dual_mov_b32 v1, s0
	global_atomic_min_i32 v0, v1, s[18:19]
.LBB7_154:
	s_nop 0
	s_sendmsg sendmsg(MSG_DEALLOC_VGPRS)
	s_endpgm
	.section	.rodata,"a",@progbits
	.p2align	6, 0x0
	.amdhsa_kernel _ZN9rocsparseL15bsrilu0_generalILj128ELj64ELb1EdEEv20rocsparse_direction_iPKiS3_PT2_S3_iPiS3_S6_21rocsparse_index_base_imNS_24const_host_device_scalarIfEENS8_IdEENS8_IS4_EEb
		.amdhsa_group_segment_fixed_size 0
		.amdhsa_private_segment_fixed_size 0
		.amdhsa_kernarg_size 116
		.amdhsa_user_sgpr_count 15
		.amdhsa_user_sgpr_dispatch_ptr 0
		.amdhsa_user_sgpr_queue_ptr 0
		.amdhsa_user_sgpr_kernarg_segment_ptr 1
		.amdhsa_user_sgpr_dispatch_id 0
		.amdhsa_user_sgpr_private_segment_size 0
		.amdhsa_wavefront_size32 1
		.amdhsa_uses_dynamic_stack 0
		.amdhsa_enable_private_segment 0
		.amdhsa_system_sgpr_workgroup_id_x 1
		.amdhsa_system_sgpr_workgroup_id_y 0
		.amdhsa_system_sgpr_workgroup_id_z 0
		.amdhsa_system_sgpr_workgroup_info 0
		.amdhsa_system_vgpr_workitem_id 0
		.amdhsa_next_free_vgpr 40
		.amdhsa_next_free_sgpr 44
		.amdhsa_reserve_vcc 1
		.amdhsa_float_round_mode_32 0
		.amdhsa_float_round_mode_16_64 0
		.amdhsa_float_denorm_mode_32 3
		.amdhsa_float_denorm_mode_16_64 3
		.amdhsa_dx10_clamp 1
		.amdhsa_ieee_mode 1
		.amdhsa_fp16_overflow 0
		.amdhsa_workgroup_processor_mode 1
		.amdhsa_memory_ordered 1
		.amdhsa_forward_progress 0
		.amdhsa_shared_vgpr_count 0
		.amdhsa_exception_fp_ieee_invalid_op 0
		.amdhsa_exception_fp_denorm_src 0
		.amdhsa_exception_fp_ieee_div_zero 0
		.amdhsa_exception_fp_ieee_overflow 0
		.amdhsa_exception_fp_ieee_underflow 0
		.amdhsa_exception_fp_ieee_inexact 0
		.amdhsa_exception_int_div_zero 0
	.end_amdhsa_kernel
	.section	.text._ZN9rocsparseL15bsrilu0_generalILj128ELj64ELb1EdEEv20rocsparse_direction_iPKiS3_PT2_S3_iPiS3_S6_21rocsparse_index_base_imNS_24const_host_device_scalarIfEENS8_IdEENS8_IS4_EEb,"axG",@progbits,_ZN9rocsparseL15bsrilu0_generalILj128ELj64ELb1EdEEv20rocsparse_direction_iPKiS3_PT2_S3_iPiS3_S6_21rocsparse_index_base_imNS_24const_host_device_scalarIfEENS8_IdEENS8_IS4_EEb,comdat
.Lfunc_end7:
	.size	_ZN9rocsparseL15bsrilu0_generalILj128ELj64ELb1EdEEv20rocsparse_direction_iPKiS3_PT2_S3_iPiS3_S6_21rocsparse_index_base_imNS_24const_host_device_scalarIfEENS8_IdEENS8_IS4_EEb, .Lfunc_end7-_ZN9rocsparseL15bsrilu0_generalILj128ELj64ELb1EdEEv20rocsparse_direction_iPKiS3_PT2_S3_iPiS3_S6_21rocsparse_index_base_imNS_24const_host_device_scalarIfEENS8_IdEENS8_IS4_EEb
                                        ; -- End function
	.section	.AMDGPU.csdata,"",@progbits
; Kernel info:
; codeLenInByte = 4424
; NumSgprs: 46
; NumVgprs: 40
; ScratchSize: 0
; MemoryBound: 0
; FloatMode: 240
; IeeeMode: 1
; LDSByteSize: 0 bytes/workgroup (compile time only)
; SGPRBlocks: 5
; VGPRBlocks: 4
; NumSGPRsForWavesPerEU: 46
; NumVGPRsForWavesPerEU: 40
; Occupancy: 16
; WaveLimiterHint : 1
; COMPUTE_PGM_RSRC2:SCRATCH_EN: 0
; COMPUTE_PGM_RSRC2:USER_SGPR: 15
; COMPUTE_PGM_RSRC2:TRAP_HANDLER: 0
; COMPUTE_PGM_RSRC2:TGID_X_EN: 1
; COMPUTE_PGM_RSRC2:TGID_Y_EN: 0
; COMPUTE_PGM_RSRC2:TGID_Z_EN: 0
; COMPUTE_PGM_RSRC2:TIDIG_COMP_CNT: 0
	.section	.text._ZN9rocsparseL15bsrilu0_generalILj128ELj32ELb0EdEEv20rocsparse_direction_iPKiS3_PT2_S3_iPiS3_S6_21rocsparse_index_base_imNS_24const_host_device_scalarIfEENS8_IdEENS8_IS4_EEb,"axG",@progbits,_ZN9rocsparseL15bsrilu0_generalILj128ELj32ELb0EdEEv20rocsparse_direction_iPKiS3_PT2_S3_iPiS3_S6_21rocsparse_index_base_imNS_24const_host_device_scalarIfEENS8_IdEENS8_IS4_EEb,comdat
	.globl	_ZN9rocsparseL15bsrilu0_generalILj128ELj32ELb0EdEEv20rocsparse_direction_iPKiS3_PT2_S3_iPiS3_S6_21rocsparse_index_base_imNS_24const_host_device_scalarIfEENS8_IdEENS8_IS4_EEb ; -- Begin function _ZN9rocsparseL15bsrilu0_generalILj128ELj32ELb0EdEEv20rocsparse_direction_iPKiS3_PT2_S3_iPiS3_S6_21rocsparse_index_base_imNS_24const_host_device_scalarIfEENS8_IdEENS8_IS4_EEb
	.p2align	8
	.type	_ZN9rocsparseL15bsrilu0_generalILj128ELj32ELb0EdEEv20rocsparse_direction_iPKiS3_PT2_S3_iPiS3_S6_21rocsparse_index_base_imNS_24const_host_device_scalarIfEENS8_IdEENS8_IS4_EEb,@function
_ZN9rocsparseL15bsrilu0_generalILj128ELj32ELb0EdEEv20rocsparse_direction_iPKiS3_PT2_S3_iPiS3_S6_21rocsparse_index_base_imNS_24const_host_device_scalarIfEENS8_IdEENS8_IS4_EEb: ; @_ZN9rocsparseL15bsrilu0_generalILj128ELj32ELb0EdEEv20rocsparse_direction_iPKiS3_PT2_S3_iPiS3_S6_21rocsparse_index_base_imNS_24const_host_device_scalarIfEENS8_IdEENS8_IS4_EEb
; %bb.0:
	s_clause 0x2
	s_load_b32 s2, s[0:1], 0x70
	s_load_b64 s[24:25], s[0:1], 0x48
	s_load_b256 s[16:23], s[0:1], 0x50
	s_waitcnt lgkmcnt(0)
	s_bitcmp1_b32 s2, 0
	s_cselect_b32 s5, -1, 0
	s_cmp_lg_u32 s25, 0
	s_cselect_b32 s26, -1, 0
	s_cmp_eq_u32 s25, 0
	s_cselect_b32 s4, -1, 0
	s_delay_alu instid0(SALU_CYCLE_1) | instskip(SKIP_3) | instid1(SALU_CYCLE_1)
	s_and_b32 s2, s4, exec_lo
	s_cselect_b32 s2, 0, s20
	s_cselect_b32 s3, 0, s21
	s_or_b32 s5, s4, s5
	s_and_b32 vcc_lo, exec_lo, s5
	s_xor_b32 s5, s5, -1
	s_cbranch_vccnz .LBB8_2
; %bb.1:
	s_load_b32 s2, s[18:19], 0x0
	s_waitcnt lgkmcnt(0)
	v_mov_b32_e32 v26, s2
	s_mov_b64 s[2:3], s[20:21]
	s_branch .LBB8_3
.LBB8_2:
	v_cndmask_b32_e64 v26, s18, 0, s4
.LBB8_3:
	v_cndmask_b32_e64 v1, 0, 1, s5
	v_dual_mov_b32 v9, s3 :: v_dual_mov_b32 v8, s2
	s_and_not1_b32 vcc_lo, exec_lo, s5
	s_cbranch_vccnz .LBB8_5
; %bb.4:
	v_dual_mov_b32 v2, s20 :: v_dual_mov_b32 v3, s21
	flat_load_b64 v[8:9], v[2:3]
.LBB8_5:
	s_and_b32 s2, s4, exec_lo
	s_cselect_b32 s3, 0, s23
	v_cmp_ne_u32_e32 vcc_lo, 1, v1
	s_cselect_b32 s2, 0, s22
	s_delay_alu instid0(SALU_CYCLE_1)
	v_dual_mov_b32 v5, s3 :: v_dual_mov_b32 v4, s2
	s_cbranch_vccnz .LBB8_7
; %bb.6:
	v_dual_mov_b32 v1, s22 :: v_dual_mov_b32 v2, s23
	flat_load_b64 v[4:5], v[1:2]
.LBB8_7:
	s_load_b64 s[20:21], s[0:1], 0x0
	v_lshrrev_b32_e32 v1, 5, v0
	s_lshl_b32 s2, s15, 2
	s_delay_alu instid0(VALU_DEP_1) | instid1(SALU_CYCLE_1)
	v_and_or_b32 v1, 0x7fffffc, s2, v1
	s_mov_b32 s2, exec_lo
	s_waitcnt lgkmcnt(0)
	s_delay_alu instid0(VALU_DEP_1)
	v_cmpx_gt_i32_e64 s21, v1
	s_cbranch_execz .LBB8_152
; %bb.8:
	s_clause 0x1
	s_load_b128 s[12:15], s[0:1], 0x30
	s_load_b64 s[18:19], s[0:1], 0x40
	v_lshlrev_b32_e32 v1, 2, v1
	s_load_b256 s[4:11], s[0:1], 0x8
	v_and_b32_e32 v0, 31, v0
	s_mov_b32 s2, -1
	s_waitcnt lgkmcnt(0)
	global_load_b32 v1, v1, s[14:15]
	s_mov_b32 s15, exec_lo
	s_waitcnt vmcnt(0)
	v_ashrrev_i32_e32 v2, 31, v1
	s_delay_alu instid0(VALU_DEP_1) | instskip(NEXT) | instid1(VALU_DEP_1)
	v_lshlrev_b64 v[2:3], 2, v[1:2]
	v_add_co_u32 v6, vcc_lo, s10, v2
	s_delay_alu instid0(VALU_DEP_2)
	v_add_co_ci_u32_e32 v7, vcc_lo, s11, v3, vcc_lo
	global_load_b32 v6, v[6:7], off
	s_waitcnt vmcnt(0)
	v_cmpx_ne_u32_e32 -1, v6
	s_cbranch_execz .LBB8_146
; %bb.9:
	v_add_co_u32 v10, vcc_lo, s4, v2
	v_add_co_ci_u32_e32 v11, vcc_lo, s5, v3, vcc_lo
	s_load_b32 s14, s[0:1], 0x28
	s_mov_b32 s3, 0
	s_mov_b32 s22, exec_lo
	global_load_b64 v[10:11], v[10:11], off
	s_waitcnt vmcnt(0)
	v_subrev_nc_u32_e32 v10, s24, v10
	v_subrev_nc_u32_e32 v25, s24, v11
	s_delay_alu instid0(VALU_DEP_2)
	v_cmpx_lt_i32_e64 v10, v6
	s_cbranch_execz .LBB8_81
; %bb.10:
	v_add_nc_u32_e32 v12, v10, v0
	s_waitcnt lgkmcnt(0)
	v_mad_u64_u32 v[15:16], null, s14, v10, v[0:1]
	s_cmp_gt_i32 s14, 0
	v_cmp_gt_i32_e64 s0, s14, v0
	v_ashrrev_i32_e32 v13, 31, v12
	s_cselect_b32 s23, -1, 0
	s_cmp_lg_u32 s20, 0
	v_cmp_le_i32_e64 s1, s14, v0
	s_delay_alu instid0(VALU_DEP_4)
	v_mul_lo_u32 v27, s14, v15
	v_lshlrev_b64 v[13:14], 2, v[12:13]
	s_cselect_b32 s27, -1, 0
	s_add_i32 s21, s21, 1
	v_cmp_lt_i32_e64 s2, v12, v25
	s_add_u32 s28, s4, 4
	s_addc_u32 s29, s5, 0
	v_add_co_u32 v13, vcc_lo, s6, v13
	v_add_co_ci_u32_e32 v14, vcc_lo, s7, v14, vcc_lo
	s_add_u32 s30, s6, 0x80
	s_mov_b32 s25, 0
	s_addc_u32 s31, s7, 0
	s_mul_i32 s33, s14, s14
	s_lshl_b32 s34, s14, 5
	s_mov_b32 s35, 0
                                        ; implicit-def: $sgpr36
                                        ; implicit-def: $sgpr37
	s_branch .LBB8_13
.LBB8_11:                               ;   in Loop: Header=BB8_13 Depth=1
	s_or_b32 exec_lo, exec_lo, s4
	s_delay_alu instid0(SALU_CYCLE_1) | instskip(SKIP_1) | instid1(SALU_CYCLE_1)
	s_and_not1_b32 s4, s37, exec_lo
	s_and_b32 s5, s25, exec_lo
	s_or_b32 s37, s4, s5
.LBB8_12:                               ;   in Loop: Header=BB8_13 Depth=1
	s_or_b32 exec_lo, exec_lo, s38
	v_add_nc_u32_e32 v10, 1, v10
	s_xor_b32 s3, s3, -1
	v_add_nc_u32_e32 v27, s33, v27
	s_mov_b32 s25, s37
	s_delay_alu instid0(VALU_DEP_2) | instskip(SKIP_1) | instid1(SALU_CYCLE_1)
	v_cmp_ge_i32_e32 vcc_lo, v10, v6
	s_or_b32 s3, s3, vcc_lo
	s_and_b32 s3, exec_lo, s3
	s_delay_alu instid0(SALU_CYCLE_1) | instskip(SKIP_2) | instid1(SALU_CYCLE_1)
	s_or_b32 s35, s3, s35
	s_and_not1_b32 s3, s36, exec_lo
	s_and_b32 s4, s37, exec_lo
	s_or_b32 s36, s3, s4
	s_and_not1_b32 exec_lo, exec_lo, s35
	s_cbranch_execz .LBB8_80
.LBB8_13:                               ; =>This Loop Header: Depth=1
                                        ;     Child Loop BB8_16 Depth 2
                                        ;     Child Loop BB8_21 Depth 2
                                        ;       Child Loop BB8_26 Depth 3
                                        ;         Child Loop BB8_36 Depth 4
                                        ;     Child Loop BB8_54 Depth 2
                                        ;       Child Loop BB8_59 Depth 3
                                        ;       Child Loop BB8_66 Depth 3
                                        ;         Child Loop BB8_69 Depth 4
                                        ;           Child Loop BB8_71 Depth 5
	v_ashrrev_i32_e32 v11, 31, v10
	s_or_b32 s37, s37, exec_lo
	s_delay_alu instid0(VALU_DEP_1) | instskip(NEXT) | instid1(VALU_DEP_1)
	v_lshlrev_b64 v[15:16], 2, v[10:11]
	v_add_co_u32 v15, vcc_lo, s6, v15
	s_delay_alu instid0(VALU_DEP_2) | instskip(SKIP_4) | instid1(VALU_DEP_1)
	v_add_co_ci_u32_e32 v16, vcc_lo, s7, v16, vcc_lo
	s_waitcnt lgkmcnt(0)
	global_load_b32 v7, v[15:16], off
	s_waitcnt vmcnt(0)
	v_subrev_nc_u32_e32 v15, s24, v7
	v_ashrrev_i32_e32 v16, 31, v15
	s_delay_alu instid0(VALU_DEP_1) | instskip(NEXT) | instid1(VALU_DEP_1)
	v_lshlrev_b64 v[15:16], 2, v[15:16]
	v_add_co_u32 v17, vcc_lo, s10, v15
	s_delay_alu instid0(VALU_DEP_2) | instskip(SKIP_3) | instid1(VALU_DEP_1)
	v_add_co_ci_u32_e32 v18, vcc_lo, s11, v16, vcc_lo
	global_load_b32 v29, v[17:18], off
	s_waitcnt vmcnt(0)
	v_cmp_ne_u32_e64 s3, -1, v29
	s_and_saveexec_b32 s38, s3
	s_cbranch_execz .LBB8_12
; %bb.14:                               ;   in Loop: Header=BB8_13 Depth=1
	v_add_co_u32 v17, vcc_lo, s28, v15
	v_add_co_ci_u32_e32 v18, vcc_lo, s29, v16, vcc_lo
	v_add_co_u32 v15, vcc_lo, s12, v15
	v_add_co_ci_u32_e32 v16, vcc_lo, s13, v16, vcc_lo
	s_mov_b32 s4, exec_lo
	global_load_b32 v30, v[17:18], off
	global_load_b32 v7, v[15:16], off glc
	s_waitcnt vmcnt(0)
	v_cmpx_eq_u32_e32 0, v7
	s_cbranch_execz .LBB8_17
; %bb.15:                               ;   in Loop: Header=BB8_13 Depth=1
	s_mov_b32 s5, 0
.LBB8_16:                               ;   Parent Loop BB8_13 Depth=1
                                        ; =>  This Inner Loop Header: Depth=2
	global_load_b32 v7, v[15:16], off glc
	s_waitcnt vmcnt(0)
	v_cmp_ne_u32_e32 vcc_lo, 0, v7
	s_or_b32 s5, vcc_lo, s5
	s_delay_alu instid0(SALU_CYCLE_1)
	s_and_not1_b32 exec_lo, exec_lo, s5
	s_cbranch_execnz .LBB8_16
.LBB8_17:                               ;   in Loop: Header=BB8_13 Depth=1
	s_or_b32 exec_lo, exec_lo, s4
	v_mul_lo_u32 v28, v10, s14
	s_and_not1_b32 vcc_lo, exec_lo, s23
	buffer_gl1_inv
	buffer_gl0_inv
	s_cbranch_vccnz .LBB8_50
; %bb.18:                               ;   in Loop: Header=BB8_13 Depth=1
	v_mul_lo_u32 v31, v29, s14
	v_mov_b32_e32 v7, 0
	s_mov_b32 s39, 0
	s_branch .LBB8_21
.LBB8_19:                               ;   in Loop: Header=BB8_21 Depth=2
	s_or_b32 exec_lo, exec_lo, s41
	v_mov_b32_e32 v7, v32
.LBB8_20:                               ;   in Loop: Header=BB8_21 Depth=2
	s_or_b32 exec_lo, exec_lo, s40
	s_delay_alu instid0(VALU_DEP_1) | instskip(SKIP_1) | instid1(SALU_CYCLE_1)
	v_cmp_eq_u32_e32 vcc_lo, s14, v7
	s_or_b32 s39, vcc_lo, s39
	s_and_not1_b32 exec_lo, exec_lo, s39
	s_cbranch_execz .LBB8_49
.LBB8_21:                               ;   Parent Loop BB8_13 Depth=1
                                        ; =>  This Loop Header: Depth=2
                                        ;       Child Loop BB8_26 Depth 3
                                        ;         Child Loop BB8_36 Depth 4
	s_delay_alu instid0(VALU_DEP_1) | instskip(SKIP_1) | instid1(SALU_CYCLE_1)
	v_add_nc_u32_e32 v32, 1, v7
	s_and_saveexec_b32 s4, s1
	s_xor_b32 s4, exec_lo, s4
; %bb.22:                               ;   in Loop: Header=BB8_21 Depth=2
	v_add_nc_u32_e32 v7, 1, v7
                                        ; implicit-def: $vgpr32
; %bb.23:                               ;   in Loop: Header=BB8_21 Depth=2
	s_and_not1_saveexec_b32 s40, s4
	s_cbranch_execz .LBB8_20
; %bb.24:                               ;   in Loop: Header=BB8_21 Depth=2
	s_delay_alu instid0(VALU_DEP_1) | instskip(SKIP_3) | instid1(VALU_DEP_3)
	v_add_nc_u32_e32 v11, v7, v31
	v_cmp_gt_i32_e64 s4, s14, v32
	v_mov_b32_e32 v35, v27
	s_mov_b32 s41, 0
	v_mul_lo_u32 v33, v11, s14
	v_add_nc_u32_e32 v11, v7, v28
	s_delay_alu instid0(VALU_DEP_1) | instskip(SKIP_1) | instid1(VALU_DEP_4)
	v_mul_lo_u32 v34, v11, s14
	v_mov_b32_e32 v11, v0
	v_add_nc_u32_e32 v15, v33, v7
	s_delay_alu instid0(VALU_DEP_1) | instskip(NEXT) | instid1(VALU_DEP_1)
	v_ashrrev_i32_e32 v16, 31, v15
	v_lshlrev_b64 v[15:16], 3, v[15:16]
	s_delay_alu instid0(VALU_DEP_1) | instskip(NEXT) | instid1(VALU_DEP_2)
	v_add_co_u32 v15, vcc_lo, s8, v15
	v_add_co_ci_u32_e32 v16, vcc_lo, s9, v16, vcc_lo
	global_load_b64 v[15:16], v[15:16], off
	s_branch .LBB8_26
.LBB8_25:                               ;   in Loop: Header=BB8_26 Depth=3
	s_or_b32 exec_lo, exec_lo, s42
	v_add_nc_u32_e32 v11, 32, v11
	v_add_nc_u32_e32 v35, s34, v35
	s_delay_alu instid0(VALU_DEP_2) | instskip(SKIP_1) | instid1(SALU_CYCLE_1)
	v_cmp_le_i32_e32 vcc_lo, s14, v11
	s_or_b32 s41, vcc_lo, s41
	s_and_not1_b32 exec_lo, exec_lo, s41
	s_cbranch_execz .LBB8_19
.LBB8_26:                               ;   Parent Loop BB8_13 Depth=1
                                        ;     Parent Loop BB8_21 Depth=2
                                        ; =>    This Loop Header: Depth=3
                                        ;         Child Loop BB8_36 Depth 4
	v_add_nc_u32_e32 v19, v11, v34
	s_and_b32 vcc_lo, exec_lo, s27
	s_cbranch_vccz .LBB8_47
; %bb.27:                               ;   in Loop: Header=BB8_26 Depth=3
	v_add_nc_u32_e32 v17, v11, v34
	v_add_nc_u32_e32 v21, v11, v28
	s_cbranch_execnz .LBB8_29
.LBB8_28:                               ;   in Loop: Header=BB8_26 Depth=3
	s_delay_alu instid0(VALU_DEP_1)
	v_mad_u64_u32 v[17:18], null, v21, s14, v[7:8]
.LBB8_29:                               ;   in Loop: Header=BB8_26 Depth=3
	s_delay_alu instid0(VALU_DEP_1) | instskip(NEXT) | instid1(VALU_DEP_1)
	v_ashrrev_i32_e32 v18, 31, v17
	v_lshlrev_b64 v[17:18], 3, v[17:18]
	s_delay_alu instid0(VALU_DEP_1) | instskip(NEXT) | instid1(VALU_DEP_2)
	v_add_co_u32 v17, vcc_lo, s8, v17
	v_add_co_ci_u32_e32 v18, vcc_lo, s9, v18, vcc_lo
	s_and_b32 vcc_lo, exec_lo, s27
	global_load_b64 v[17:18], v[17:18], off
	s_cbranch_vccz .LBB8_48
; %bb.30:                               ;   in Loop: Header=BB8_26 Depth=3
	s_cbranch_execnz .LBB8_32
.LBB8_31:                               ;   in Loop: Header=BB8_26 Depth=3
	v_mad_u64_u32 v[19:20], null, v21, s14, v[7:8]
.LBB8_32:                               ;   in Loop: Header=BB8_26 Depth=3
	s_waitcnt vmcnt(0)
	v_div_scale_f64 v[20:21], null, v[15:16], v[15:16], v[17:18]
	s_delay_alu instid0(VALU_DEP_1) | instskip(SKIP_2) | instid1(VALU_DEP_1)
	v_rcp_f64_e32 v[22:23], v[20:21]
	s_waitcnt_depctr 0xfff
	v_fma_f64 v[36:37], -v[20:21], v[22:23], 1.0
	v_fma_f64 v[22:23], v[22:23], v[36:37], v[22:23]
	s_delay_alu instid0(VALU_DEP_1) | instskip(NEXT) | instid1(VALU_DEP_1)
	v_fma_f64 v[36:37], -v[20:21], v[22:23], 1.0
	v_fma_f64 v[22:23], v[22:23], v[36:37], v[22:23]
	v_div_scale_f64 v[36:37], vcc_lo, v[17:18], v[15:16], v[17:18]
	s_delay_alu instid0(VALU_DEP_1) | instskip(NEXT) | instid1(VALU_DEP_1)
	v_mul_f64 v[38:39], v[36:37], v[22:23]
	v_fma_f64 v[20:21], -v[20:21], v[38:39], v[36:37]
	s_delay_alu instid0(VALU_DEP_1) | instskip(NEXT) | instid1(VALU_DEP_1)
	v_div_fmas_f64 v[20:21], v[20:21], v[22:23], v[38:39]
	v_div_fixup_f64 v[17:18], v[20:21], v[15:16], v[17:18]
	v_ashrrev_i32_e32 v20, 31, v19
	s_delay_alu instid0(VALU_DEP_1) | instskip(NEXT) | instid1(VALU_DEP_1)
	v_lshlrev_b64 v[19:20], 3, v[19:20]
	v_add_co_u32 v19, vcc_lo, s8, v19
	s_delay_alu instid0(VALU_DEP_2)
	v_add_co_ci_u32_e32 v20, vcc_lo, s9, v20, vcc_lo
	global_store_b64 v[19:20], v[17:18], off
	s_and_saveexec_b32 s42, s4
	s_cbranch_execz .LBB8_25
; %bb.33:                               ;   in Loop: Header=BB8_26 Depth=3
	v_mov_b32_e32 v36, v32
	s_mov_b32 s43, 0
	s_branch .LBB8_36
.LBB8_34:                               ;   in Loop: Header=BB8_36 Depth=4
	v_mov_b32_e32 v21, v38
.LBB8_35:                               ;   in Loop: Header=BB8_36 Depth=4
	s_waitcnt vmcnt(0)
	v_fma_f64 v[19:20], -v[17:18], v[19:20], v[23:24]
	s_delay_alu instid0(VALU_DEP_2) | instskip(SKIP_1) | instid1(VALU_DEP_2)
	v_ashrrev_i32_e32 v22, 31, v21
	v_add_nc_u32_e32 v36, 1, v36
	v_lshlrev_b64 v[21:22], 3, v[21:22]
	s_delay_alu instid0(VALU_DEP_2) | instskip(SKIP_1) | instid1(VALU_DEP_2)
	v_cmp_le_i32_e32 vcc_lo, s14, v36
	s_or_b32 s43, vcc_lo, s43
	v_add_co_u32 v21, s5, s8, v21
	s_delay_alu instid0(VALU_DEP_1)
	v_add_co_ci_u32_e64 v22, s5, s9, v22, s5
	global_store_b64 v[21:22], v[19:20], off
	s_and_not1_b32 exec_lo, exec_lo, s43
	s_cbranch_execz .LBB8_25
.LBB8_36:                               ;   Parent Loop BB8_13 Depth=1
                                        ;     Parent Loop BB8_21 Depth=2
                                        ;       Parent Loop BB8_26 Depth=3
                                        ; =>      This Inner Loop Header: Depth=4
	s_and_b32 vcc_lo, exec_lo, s27
	s_cbranch_vccz .LBB8_44
; %bb.37:                               ;   in Loop: Header=BB8_36 Depth=4
	v_add_nc_u32_e32 v21, v36, v31
	s_delay_alu instid0(VALU_DEP_1)
	v_mad_u64_u32 v[19:20], null, v21, s14, v[7:8]
	s_cbranch_execnz .LBB8_39
.LBB8_38:                               ;   in Loop: Header=BB8_36 Depth=4
	v_add_nc_u32_e32 v19, v33, v36
.LBB8_39:                               ;   in Loop: Header=BB8_36 Depth=4
	s_delay_alu instid0(VALU_DEP_1) | instskip(SKIP_1) | instid1(VALU_DEP_2)
	v_ashrrev_i32_e32 v20, 31, v19
	v_add_nc_u32_e32 v37, v36, v28
	v_lshlrev_b64 v[19:20], 3, v[19:20]
	s_delay_alu instid0(VALU_DEP_1) | instskip(NEXT) | instid1(VALU_DEP_2)
	v_add_co_u32 v19, vcc_lo, s8, v19
	v_add_co_ci_u32_e32 v20, vcc_lo, s9, v20, vcc_lo
	s_and_b32 vcc_lo, exec_lo, s27
	global_load_b64 v[19:20], v[19:20], off
	s_cbranch_vccz .LBB8_45
; %bb.40:                               ;   in Loop: Header=BB8_36 Depth=4
	v_mad_u64_u32 v[21:22], null, v37, s14, v[11:12]
	v_add_nc_u32_e32 v38, v35, v36
	s_cbranch_execnz .LBB8_42
.LBB8_41:                               ;   in Loop: Header=BB8_36 Depth=4
	v_add_nc_u32_e32 v21, v35, v36
.LBB8_42:                               ;   in Loop: Header=BB8_36 Depth=4
	s_delay_alu instid0(VALU_DEP_1) | instskip(NEXT) | instid1(VALU_DEP_1)
	v_ashrrev_i32_e32 v22, 31, v21
	v_lshlrev_b64 v[21:22], 3, v[21:22]
	s_delay_alu instid0(VALU_DEP_1) | instskip(NEXT) | instid1(VALU_DEP_2)
	v_add_co_u32 v21, vcc_lo, s8, v21
	v_add_co_ci_u32_e32 v22, vcc_lo, s9, v22, vcc_lo
	s_and_b32 vcc_lo, exec_lo, s27
	global_load_b64 v[23:24], v[21:22], off
	s_cbranch_vccz .LBB8_46
; %bb.43:                               ;   in Loop: Header=BB8_36 Depth=4
	v_mad_u64_u32 v[21:22], null, v37, s14, v[11:12]
	s_cbranch_execnz .LBB8_35
	s_branch .LBB8_34
.LBB8_44:                               ;   in Loop: Header=BB8_36 Depth=4
                                        ; implicit-def: $vgpr19
	s_branch .LBB8_38
.LBB8_45:                               ;   in Loop: Header=BB8_36 Depth=4
                                        ; implicit-def: $vgpr21
	v_add_nc_u32_e32 v38, v35, v36
	s_branch .LBB8_41
.LBB8_46:                               ;   in Loop: Header=BB8_36 Depth=4
                                        ; implicit-def: $vgpr21
	s_branch .LBB8_34
.LBB8_47:                               ;   in Loop: Header=BB8_26 Depth=3
                                        ; implicit-def: $vgpr17
	v_add_nc_u32_e32 v21, v11, v28
	s_branch .LBB8_28
.LBB8_48:                               ;   in Loop: Header=BB8_26 Depth=3
                                        ; implicit-def: $vgpr19
	s_branch .LBB8_31
.LBB8_49:                               ;   in Loop: Header=BB8_13 Depth=1
	s_or_b32 exec_lo, exec_lo, s39
.LBB8_50:                               ;   in Loop: Header=BB8_13 Depth=1
	v_subrev_nc_u32_e32 v11, s24, v30
	v_add_nc_u32_e32 v15, 1, v29
	s_mov_b32 s4, exec_lo
	s_delay_alu instid0(VALU_DEP_1)
	v_cmpx_lt_i32_e64 v15, v11
	s_cbranch_execz .LBB8_11
; %bb.51:                               ;   in Loop: Header=BB8_13 Depth=1
	v_mul_lo_u32 v22, s33, v15
	s_mov_b32 s5, 0
	s_branch .LBB8_54
.LBB8_52:                               ;   in Loop: Header=BB8_54 Depth=2
	s_or_b32 exec_lo, exec_lo, s39
.LBB8_53:                               ;   in Loop: Header=BB8_54 Depth=2
	v_add_nc_u32_e32 v15, 1, v15
	v_add_nc_u32_e32 v22, s33, v22
	s_delay_alu instid0(VALU_DEP_2) | instskip(SKIP_1) | instid1(SALU_CYCLE_1)
	v_cmp_ge_i32_e32 vcc_lo, v15, v11
	s_or_b32 s5, vcc_lo, s5
	s_and_not1_b32 exec_lo, exec_lo, s5
	s_cbranch_execz .LBB8_11
.LBB8_54:                               ;   Parent Loop BB8_13 Depth=1
                                        ; =>  This Loop Header: Depth=2
                                        ;       Child Loop BB8_59 Depth 3
                                        ;       Child Loop BB8_66 Depth 3
                                        ;         Child Loop BB8_69 Depth 4
                                        ;           Child Loop BB8_71 Depth 5
	v_ashrrev_i32_e32 v16, 31, v15
	s_delay_alu instid0(VALU_DEP_1) | instskip(NEXT) | instid1(VALU_DEP_1)
	v_lshlrev_b64 v[16:17], 2, v[15:16]
	v_add_co_u32 v16, vcc_lo, s6, v16
	s_delay_alu instid0(VALU_DEP_2)
	v_add_co_ci_u32_e32 v17, vcc_lo, s7, v17, vcc_lo
	s_waitcnt lgkmcnt(0)
	global_load_b32 v7, v[16:17], off
	v_mov_b32_e32 v17, s21
	s_and_saveexec_b32 s39, s2
	s_cbranch_execz .LBB8_56
; %bb.55:                               ;   in Loop: Header=BB8_54 Depth=2
	global_load_b32 v16, v[13:14], off
	s_waitcnt vmcnt(0)
	v_subrev_nc_u32_e32 v17, s24, v16
.LBB8_56:                               ;   in Loop: Header=BB8_54 Depth=2
	s_or_b32 exec_lo, exec_lo, s39
	s_waitcnt vmcnt(0)
	v_subrev_nc_u32_e32 v7, s24, v7
	v_mov_b32_e32 v18, v12
	s_mov_b32 s39, exec_lo
	s_delay_alu instid0(VALU_DEP_2)
	v_cmpx_lt_i32_e64 v17, v7
	s_cbranch_execz .LBB8_62
; %bb.57:                               ;   in Loop: Header=BB8_54 Depth=2
	v_mov_b32_e32 v16, v12
	s_mov_b32 s40, 0
	s_branch .LBB8_59
	.p2align	6
.LBB8_58:                               ;   in Loop: Header=BB8_59 Depth=3
	s_or_b32 exec_lo, exec_lo, s41
	s_delay_alu instid0(VALU_DEP_1) | instskip(SKIP_2) | instid1(SALU_CYCLE_1)
	v_cmp_ge_i32_e32 vcc_lo, v17, v7
	v_mov_b32_e32 v16, v18
	s_or_b32 s40, vcc_lo, s40
	s_and_not1_b32 exec_lo, exec_lo, s40
	s_cbranch_execz .LBB8_61
.LBB8_59:                               ;   Parent Loop BB8_13 Depth=1
                                        ;     Parent Loop BB8_54 Depth=2
                                        ; =>    This Inner Loop Header: Depth=3
	s_delay_alu instid0(VALU_DEP_1) | instskip(SKIP_1) | instid1(VALU_DEP_1)
	v_dual_mov_b32 v17, s21 :: v_dual_add_nc_u32 v18, 32, v16
	s_mov_b32 s41, exec_lo
	v_cmpx_lt_i32_e64 v18, v25
	s_cbranch_execz .LBB8_58
; %bb.60:                               ;   in Loop: Header=BB8_59 Depth=3
	v_ashrrev_i32_e32 v17, 31, v16
	s_delay_alu instid0(VALU_DEP_1) | instskip(NEXT) | instid1(VALU_DEP_1)
	v_lshlrev_b64 v[16:17], 2, v[16:17]
	v_add_co_u32 v16, vcc_lo, s30, v16
	s_delay_alu instid0(VALU_DEP_2)
	v_add_co_ci_u32_e32 v17, vcc_lo, s31, v17, vcc_lo
	global_load_b32 v16, v[16:17], off
	s_waitcnt vmcnt(0)
	v_subrev_nc_u32_e32 v17, s24, v16
	s_branch .LBB8_58
.LBB8_61:                               ;   in Loop: Header=BB8_54 Depth=2
	s_or_b32 exec_lo, exec_lo, s40
.LBB8_62:                               ;   in Loop: Header=BB8_54 Depth=2
	s_delay_alu instid0(SALU_CYCLE_1)
	s_or_b32 exec_lo, exec_lo, s39
	v_cmp_eq_u32_e32 vcc_lo, v17, v7
	s_cbranch_vccz .LBB8_53
; %bb.63:                               ;   in Loop: Header=BB8_54 Depth=2
	s_ctz_i32_b32 s39, vcc_lo
	s_delay_alu instid0(SALU_CYCLE_1) | instskip(NEXT) | instid1(SALU_CYCLE_1)
	s_lshl_b32 s39, s39, 2
	v_mov_b32_e32 v7, s39
	ds_bpermute_b32 v7, v7, v18
	s_and_saveexec_b32 s39, s0
	s_cbranch_execz .LBB8_52
; %bb.64:                               ;   in Loop: Header=BB8_54 Depth=2
	v_mul_lo_u32 v23, v15, s14
	s_waitcnt lgkmcnt(0)
	v_mul_lo_u32 v24, v7, s14
	v_mov_b32_e32 v29, v27
	v_mov_b32_e32 v7, v0
	s_mov_b32 s40, 0
	s_branch .LBB8_66
.LBB8_65:                               ;   in Loop: Header=BB8_66 Depth=3
	v_add_nc_u32_e32 v7, 32, v7
	v_add_nc_u32_e32 v29, s34, v29
	s_delay_alu instid0(VALU_DEP_2) | instskip(SKIP_1) | instid1(SALU_CYCLE_1)
	v_cmp_le_i32_e32 vcc_lo, s14, v7
	s_or_b32 s40, vcc_lo, s40
	s_and_not1_b32 exec_lo, exec_lo, s40
	s_cbranch_execz .LBB8_52
.LBB8_66:                               ;   Parent Loop BB8_13 Depth=1
                                        ;     Parent Loop BB8_54 Depth=2
                                        ; =>    This Loop Header: Depth=3
                                        ;         Child Loop BB8_69 Depth 4
                                        ;           Child Loop BB8_71 Depth 5
	s_delay_alu instid0(VALU_DEP_1) | instskip(SKIP_1) | instid1(VALU_DEP_1)
	v_dual_mov_b32 v31, v22 :: v_dual_add_nc_u32 v16, v7, v24
	s_mov_b32 s41, 0
	v_mul_lo_u32 v30, v16, s14
	s_branch .LBB8_69
.LBB8_67:                               ;   in Loop: Header=BB8_69 Depth=4
	v_add_nc_u32_e32 v18, s41, v30
.LBB8_68:                               ;   in Loop: Header=BB8_69 Depth=4
	s_delay_alu instid0(VALU_DEP_1) | instskip(SKIP_2) | instid1(SALU_CYCLE_1)
	v_ashrrev_i32_e32 v19, 31, v18
	v_add_nc_u32_e32 v31, 1, v31
	s_add_i32 s41, s41, 1
	s_cmp_eq_u32 s41, s14
	s_delay_alu instid0(VALU_DEP_2) | instskip(NEXT) | instid1(VALU_DEP_1)
	v_lshlrev_b64 v[18:19], 3, v[18:19]
	v_add_co_u32 v18, vcc_lo, s8, v18
	s_delay_alu instid0(VALU_DEP_2)
	v_add_co_ci_u32_e32 v19, vcc_lo, s9, v19, vcc_lo
	global_load_b64 v[20:21], v[18:19], off
	s_waitcnt vmcnt(0)
	v_add_f64 v[16:17], v[20:21], -v[16:17]
	global_store_b64 v[18:19], v[16:17], off
	s_cbranch_scc1 .LBB8_65
.LBB8_69:                               ;   Parent Loop BB8_13 Depth=1
                                        ;     Parent Loop BB8_54 Depth=2
                                        ;       Parent Loop BB8_66 Depth=3
                                        ; =>      This Loop Header: Depth=4
                                        ;           Child Loop BB8_71 Depth 5
	s_delay_alu instid0(VALU_DEP_2) | instskip(SKIP_1) | instid1(VALU_DEP_1)
	v_dual_mov_b32 v33, v31 :: v_dual_add_nc_u32 v16, s41, v23
	s_mov_b32 s42, 0
	v_mul_lo_u32 v32, v16, s14
	v_mov_b32_e32 v16, 0
	v_mov_b32_e32 v17, 0
	s_set_inst_prefetch_distance 0x1
	s_branch .LBB8_71
	.p2align	6
.LBB8_70:                               ;   in Loop: Header=BB8_71 Depth=5
	s_delay_alu instid0(VALU_DEP_1) | instskip(SKIP_2) | instid1(SALU_CYCLE_1)
	v_ashrrev_i32_e32 v21, 31, v20
	v_add_nc_u32_e32 v33, s14, v33
	s_add_i32 s42, s42, 1
	s_cmp_eq_u32 s14, s42
	s_delay_alu instid0(VALU_DEP_2) | instskip(NEXT) | instid1(VALU_DEP_1)
	v_lshlrev_b64 v[20:21], 3, v[20:21]
	v_add_co_u32 v20, vcc_lo, s8, v20
	s_delay_alu instid0(VALU_DEP_2)
	v_add_co_ci_u32_e32 v21, vcc_lo, s9, v21, vcc_lo
	global_load_b64 v[20:21], v[20:21], off
	s_waitcnt vmcnt(0)
	v_fma_f64 v[16:17], v[18:19], v[20:21], v[16:17]
	s_cbranch_scc1 .LBB8_77
.LBB8_71:                               ;   Parent Loop BB8_13 Depth=1
                                        ;     Parent Loop BB8_54 Depth=2
                                        ;       Parent Loop BB8_66 Depth=3
                                        ;         Parent Loop BB8_69 Depth=4
                                        ; =>        This Inner Loop Header: Depth=5
	s_and_b32 vcc_lo, exec_lo, s27
	s_cbranch_vccz .LBB8_76
; %bb.72:                               ;   in Loop: Header=BB8_71 Depth=5
	v_add_nc_u32_e32 v20, s42, v28
	s_delay_alu instid0(VALU_DEP_1)
	v_mad_u64_u32 v[18:19], null, v20, s14, v[7:8]
	s_cbranch_execnz .LBB8_74
.LBB8_73:                               ;   in Loop: Header=BB8_71 Depth=5
	v_add_nc_u32_e32 v18, s42, v29
.LBB8_74:                               ;   in Loop: Header=BB8_71 Depth=5
	s_delay_alu instid0(VALU_DEP_1) | instskip(SKIP_1) | instid1(VALU_DEP_2)
	v_ashrrev_i32_e32 v19, 31, v18
	v_mov_b32_e32 v20, v33
	v_lshlrev_b64 v[18:19], 3, v[18:19]
	s_delay_alu instid0(VALU_DEP_1) | instskip(NEXT) | instid1(VALU_DEP_2)
	v_add_co_u32 v18, vcc_lo, s8, v18
	v_add_co_ci_u32_e32 v19, vcc_lo, s9, v19, vcc_lo
	s_and_not1_b32 vcc_lo, exec_lo, s27
	global_load_b64 v[18:19], v[18:19], off
	s_cbranch_vccnz .LBB8_70
; %bb.75:                               ;   in Loop: Header=BB8_71 Depth=5
	v_add_nc_u32_e32 v20, s42, v32
	s_branch .LBB8_70
	.p2align	6
.LBB8_76:                               ;   in Loop: Header=BB8_71 Depth=5
                                        ; implicit-def: $vgpr18
	s_branch .LBB8_73
.LBB8_77:                               ;   in Loop: Header=BB8_69 Depth=4
	s_set_inst_prefetch_distance 0x2
	s_and_b32 vcc_lo, exec_lo, s27
	s_cbranch_vccz .LBB8_79
; %bb.78:                               ;   in Loop: Header=BB8_69 Depth=4
	v_add_nc_u32_e32 v20, s41, v24
	s_delay_alu instid0(VALU_DEP_1)
	v_mad_u64_u32 v[18:19], null, v20, s14, v[7:8]
	s_cbranch_execnz .LBB8_68
	s_branch .LBB8_67
.LBB8_79:                               ;   in Loop: Header=BB8_69 Depth=4
                                        ; implicit-def: $vgpr18
	s_branch .LBB8_67
.LBB8_80:
	s_or_b32 exec_lo, exec_lo, s35
	s_delay_alu instid0(SALU_CYCLE_1)
	s_and_b32 s3, s36, exec_lo
.LBB8_81:
	s_or_b32 exec_lo, exec_lo, s22
	s_waitcnt lgkmcnt(0)
	v_ashrrev_i32_e32 v7, 31, v6
	s_cmp_gt_i32 s14, 0
	s_cselect_b32 s4, -1, 0
	s_delay_alu instid0(VALU_DEP_1) | instskip(NEXT) | instid1(VALU_DEP_1)
	v_lshlrev_b64 v[10:11], 2, v[6:7]
	v_add_co_u32 v10, vcc_lo, s6, v10
	s_delay_alu instid0(VALU_DEP_2) | instskip(SKIP_4) | instid1(VALU_DEP_1)
	v_add_co_ci_u32_e32 v11, vcc_lo, s7, v11, vcc_lo
	s_mov_b32 s6, 0
	global_load_b32 v7, v[10:11], off
	s_waitcnt vmcnt(0)
	v_subrev_nc_u32_e32 v7, s24, v7
	v_cmp_eq_u32_e32 vcc_lo, v7, v1
	s_and_b32 s0, s4, vcc_lo
	s_delay_alu instid0(SALU_CYCLE_1)
	s_and_saveexec_b32 s5, s0
	s_cbranch_execz .LBB8_121
; %bb.82:
	v_cvt_f64_f32_e32 v[10:11], v26
	v_mul_lo_u32 v21, v6, s14
	s_cmp_eq_u64 s[16:17], 8
	v_cmp_eq_u32_e64 s0, 0, v0
	s_cselect_b32 vcc_lo, -1, 0
	v_mov_b32_e32 v7, 0
	s_cmp_lg_u32 s20, 0
	s_mov_b32 s16, s3
	s_cselect_b32 s7, -1, 0
	v_add3_u32 v22, v21, v0, 1
	s_lshl_b32 s10, s14, 5
                                        ; implicit-def: $sgpr11
	v_dual_cndmask_b32 v8, v10, v8 :: v_dual_cndmask_b32 v9, v11, v9
	s_branch .LBB8_84
.LBB8_83:                               ;   in Loop: Header=BB8_84 Depth=1
	s_or_b32 exec_lo, exec_lo, s1
	s_delay_alu instid0(VALU_DEP_1) | instskip(SKIP_4) | instid1(SALU_CYCLE_1)
	v_cmp_eq_u32_e32 vcc_lo, s14, v24
	v_mov_b32_e32 v7, v24
	s_or_b32 s6, vcc_lo, s6
	s_and_not1_b32 s1, s11, exec_lo
	s_and_b32 s2, s16, exec_lo
	s_or_b32 s11, s1, s2
	s_and_not1_b32 exec_lo, exec_lo, s6
	s_cbranch_execz .LBB8_120
.LBB8_84:                               ; =>This Loop Header: Depth=1
                                        ;     Child Loop BB8_94 Depth 2
                                        ;       Child Loop BB8_104 Depth 3
	v_add_nc_u32_e32 v10, v7, v21
	s_mov_b32 s17, 0
	s_delay_alu instid0(VALU_DEP_1) | instskip(NEXT) | instid1(VALU_DEP_1)
	v_mul_lo_u32 v23, v10, s14
	v_add_nc_u32_e32 v10, v23, v7
	s_delay_alu instid0(VALU_DEP_1) | instskip(NEXT) | instid1(VALU_DEP_1)
	v_ashrrev_i32_e32 v11, 31, v10
	v_lshlrev_b64 v[10:11], 3, v[10:11]
	s_delay_alu instid0(VALU_DEP_1) | instskip(NEXT) | instid1(VALU_DEP_2)
	v_add_co_u32 v14, vcc_lo, s8, v10
	v_add_co_ci_u32_e32 v15, vcc_lo, s9, v11, vcc_lo
	s_and_not1_b32 vcc_lo, exec_lo, s26
	global_load_b64 v[10:11], v[14:15], off
	s_cbranch_vccnz .LBB8_89
; %bb.85:                               ;   in Loop: Header=BB8_84 Depth=1
	s_waitcnt vmcnt(0)
	v_cmp_gt_f64_e32 vcc_lo, 0, v[10:11]
	v_xor_b32_e32 v12, 0x80000000, v11
	s_delay_alu instid0(VALU_DEP_1) | instskip(NEXT) | instid1(VALU_DEP_1)
	v_dual_cndmask_b32 v13, v11, v12 :: v_dual_cndmask_b32 v12, v10, v10
	v_cmp_le_f64_e32 vcc_lo, v[12:13], v[8:9]
	v_dual_cndmask_b32 v13, v11, v5 :: v_dual_cndmask_b32 v12, v10, v4
	s_and_saveexec_b32 s1, s0
	s_cbranch_execz .LBB8_87
; %bb.86:                               ;   in Loop: Header=BB8_84 Depth=1
	global_store_b64 v[14:15], v[12:13], off
.LBB8_87:                               ;   in Loop: Header=BB8_84 Depth=1
	s_or_b32 exec_lo, exec_lo, s1
	s_mov_b32 s1, -1
	s_cbranch_execz .LBB8_90
; %bb.88:                               ;   in Loop: Header=BB8_84 Depth=1
	s_waitcnt vmcnt(0)
	v_dual_mov_b32 v10, v12 :: v_dual_mov_b32 v11, v13
                                        ; implicit-def: $sgpr2
                                        ; implicit-def: $vgpr24
	s_and_saveexec_b32 s21, s1
	s_delay_alu instid0(SALU_CYCLE_1)
	s_xor_b32 s21, exec_lo, s21
	s_cbranch_execz .LBB8_118
	s_branch .LBB8_91
.LBB8_89:                               ;   in Loop: Header=BB8_84 Depth=1
	s_mov_b32 s1, 0
                                        ; implicit-def: $vgpr12_vgpr13
.LBB8_90:                               ;   in Loop: Header=BB8_84 Depth=1
	s_waitcnt vmcnt(0)
	v_cmp_neq_f64_e32 vcc_lo, 0, v[10:11]
	s_and_not1_b32 s1, s1, exec_lo
	s_mov_b32 s17, -1
	s_and_b32 s2, vcc_lo, exec_lo
	s_delay_alu instid0(SALU_CYCLE_1) | instskip(NEXT) | instid1(SALU_CYCLE_1)
	s_or_b32 s1, s1, s2
                                        ; implicit-def: $sgpr2
                                        ; implicit-def: $vgpr24
	s_and_saveexec_b32 s21, s1
	s_delay_alu instid0(SALU_CYCLE_1)
	s_xor_b32 s21, exec_lo, s21
	s_cbranch_execz .LBB8_118
.LBB8_91:                               ;   in Loop: Header=BB8_84 Depth=1
	v_add_nc_u32_e32 v24, 1, v7
	s_mov_b32 s22, exec_lo
	s_delay_alu instid0(VALU_DEP_1) | instskip(NEXT) | instid1(VALU_DEP_1)
	v_add_nc_u32_e32 v12, v24, v0
	v_cmpx_gt_i32_e64 s14, v12
	s_cbranch_execz .LBB8_117
; %bb.92:                               ;   in Loop: Header=BB8_84 Depth=1
	v_add_nc_u32_e32 v13, v22, v7
	v_cmp_gt_i32_e64 s1, s14, v24
	s_mov_b32 s23, 0
	s_delay_alu instid0(VALU_DEP_2)
	v_mul_lo_u32 v26, s14, v13
	s_branch .LBB8_94
.LBB8_93:                               ;   in Loop: Header=BB8_94 Depth=2
	s_or_b32 exec_lo, exec_lo, s25
	v_add_nc_u32_e32 v12, 32, v12
	v_add_nc_u32_e32 v26, s10, v26
	s_delay_alu instid0(VALU_DEP_2) | instskip(SKIP_1) | instid1(SALU_CYCLE_1)
	v_cmp_le_i32_e32 vcc_lo, s14, v12
	s_or_b32 s23, vcc_lo, s23
	s_and_not1_b32 exec_lo, exec_lo, s23
	s_cbranch_execz .LBB8_117
.LBB8_94:                               ;   Parent Loop BB8_84 Depth=1
                                        ; =>  This Loop Header: Depth=2
                                        ;       Child Loop BB8_104 Depth 3
	v_add_nc_u32_e32 v15, v12, v23
	s_and_b32 vcc_lo, exec_lo, s7
	s_cbranch_vccz .LBB8_115
; %bb.95:                               ;   in Loop: Header=BB8_94 Depth=2
	v_add_nc_u32_e32 v13, v12, v23
	s_cbranch_execnz .LBB8_97
.LBB8_96:                               ;   in Loop: Header=BB8_94 Depth=2
	v_add_nc_u32_e32 v16, v12, v21
	s_delay_alu instid0(VALU_DEP_1)
	v_mad_u64_u32 v[13:14], null, v16, s14, v[7:8]
.LBB8_97:                               ;   in Loop: Header=BB8_94 Depth=2
	s_delay_alu instid0(VALU_DEP_1) | instskip(NEXT) | instid1(VALU_DEP_1)
	v_ashrrev_i32_e32 v14, 31, v13
	v_lshlrev_b64 v[13:14], 3, v[13:14]
	s_delay_alu instid0(VALU_DEP_1) | instskip(NEXT) | instid1(VALU_DEP_2)
	v_add_co_u32 v13, vcc_lo, s8, v13
	v_add_co_ci_u32_e32 v14, vcc_lo, s9, v14, vcc_lo
	s_and_b32 vcc_lo, exec_lo, s7
	global_load_b64 v[13:14], v[13:14], off
	s_cbranch_vccz .LBB8_116
; %bb.98:                               ;   in Loop: Header=BB8_94 Depth=2
	s_cbranch_execnz .LBB8_100
.LBB8_99:                               ;   in Loop: Header=BB8_94 Depth=2
	v_add_nc_u32_e32 v17, v12, v21
	s_delay_alu instid0(VALU_DEP_1)
	v_mad_u64_u32 v[15:16], null, v17, s14, v[7:8]
.LBB8_100:                              ;   in Loop: Header=BB8_94 Depth=2
	s_waitcnt vmcnt(0)
	v_div_scale_f64 v[16:17], null, v[10:11], v[10:11], v[13:14]
	s_delay_alu instid0(VALU_DEP_1) | instskip(SKIP_2) | instid1(VALU_DEP_1)
	v_rcp_f64_e32 v[18:19], v[16:17]
	s_waitcnt_depctr 0xfff
	v_fma_f64 v[27:28], -v[16:17], v[18:19], 1.0
	v_fma_f64 v[18:19], v[18:19], v[27:28], v[18:19]
	s_delay_alu instid0(VALU_DEP_1) | instskip(NEXT) | instid1(VALU_DEP_1)
	v_fma_f64 v[27:28], -v[16:17], v[18:19], 1.0
	v_fma_f64 v[18:19], v[18:19], v[27:28], v[18:19]
	v_div_scale_f64 v[27:28], vcc_lo, v[13:14], v[10:11], v[13:14]
	s_delay_alu instid0(VALU_DEP_1) | instskip(NEXT) | instid1(VALU_DEP_1)
	v_mul_f64 v[29:30], v[27:28], v[18:19]
	v_fma_f64 v[16:17], -v[16:17], v[29:30], v[27:28]
	s_delay_alu instid0(VALU_DEP_1) | instskip(NEXT) | instid1(VALU_DEP_1)
	v_div_fmas_f64 v[16:17], v[16:17], v[18:19], v[29:30]
	v_div_fixup_f64 v[13:14], v[16:17], v[10:11], v[13:14]
	v_ashrrev_i32_e32 v16, 31, v15
	s_delay_alu instid0(VALU_DEP_1) | instskip(NEXT) | instid1(VALU_DEP_1)
	v_lshlrev_b64 v[15:16], 3, v[15:16]
	v_add_co_u32 v15, vcc_lo, s8, v15
	s_delay_alu instid0(VALU_DEP_2)
	v_add_co_ci_u32_e32 v16, vcc_lo, s9, v16, vcc_lo
	global_store_b64 v[15:16], v[13:14], off
	s_and_saveexec_b32 s25, s1
	s_cbranch_execz .LBB8_93
; %bb.101:                              ;   in Loop: Header=BB8_94 Depth=2
	v_mov_b32_e32 v27, v24
	s_mov_b32 s27, 0
	s_branch .LBB8_104
.LBB8_102:                              ;   in Loop: Header=BB8_104 Depth=3
	v_add_nc_u32_e32 v17, v26, v27
.LBB8_103:                              ;   in Loop: Header=BB8_104 Depth=3
	s_waitcnt vmcnt(0)
	v_fma_f64 v[15:16], -v[13:14], v[15:16], v[19:20]
	s_delay_alu instid0(VALU_DEP_2) | instskip(SKIP_1) | instid1(VALU_DEP_2)
	v_ashrrev_i32_e32 v18, 31, v17
	v_add_nc_u32_e32 v27, 1, v27
	v_lshlrev_b64 v[17:18], 3, v[17:18]
	s_delay_alu instid0(VALU_DEP_2) | instskip(SKIP_1) | instid1(VALU_DEP_2)
	v_cmp_le_i32_e32 vcc_lo, s14, v27
	s_or_b32 s27, vcc_lo, s27
	v_add_co_u32 v17, s2, s8, v17
	s_delay_alu instid0(VALU_DEP_1)
	v_add_co_ci_u32_e64 v18, s2, s9, v18, s2
	global_store_b64 v[17:18], v[15:16], off
	s_and_not1_b32 exec_lo, exec_lo, s27
	s_cbranch_execz .LBB8_93
.LBB8_104:                              ;   Parent Loop BB8_84 Depth=1
                                        ;     Parent Loop BB8_94 Depth=2
                                        ; =>    This Inner Loop Header: Depth=3
	s_delay_alu instid0(VALU_DEP_1)
	v_add_nc_u32_e32 v28, v27, v21
	s_and_b32 vcc_lo, exec_lo, s7
	s_cbranch_vccz .LBB8_112
; %bb.105:                              ;   in Loop: Header=BB8_104 Depth=3
	s_delay_alu instid0(VALU_DEP_1)
	v_mad_u64_u32 v[15:16], null, v28, s14, v[7:8]
	s_cbranch_execnz .LBB8_107
.LBB8_106:                              ;   in Loop: Header=BB8_104 Depth=3
	v_add_nc_u32_e32 v15, v23, v27
.LBB8_107:                              ;   in Loop: Header=BB8_104 Depth=3
	s_delay_alu instid0(VALU_DEP_1) | instskip(NEXT) | instid1(VALU_DEP_1)
	v_ashrrev_i32_e32 v16, 31, v15
	v_lshlrev_b64 v[15:16], 3, v[15:16]
	s_delay_alu instid0(VALU_DEP_1) | instskip(NEXT) | instid1(VALU_DEP_2)
	v_add_co_u32 v15, vcc_lo, s8, v15
	v_add_co_ci_u32_e32 v16, vcc_lo, s9, v16, vcc_lo
	s_and_b32 vcc_lo, exec_lo, s7
	global_load_b64 v[15:16], v[15:16], off
	s_cbranch_vccz .LBB8_113
; %bb.108:                              ;   in Loop: Header=BB8_104 Depth=3
	v_mad_u64_u32 v[17:18], null, v28, s14, v[12:13]
	s_cbranch_execnz .LBB8_110
.LBB8_109:                              ;   in Loop: Header=BB8_104 Depth=3
	v_add_nc_u32_e32 v17, v26, v27
.LBB8_110:                              ;   in Loop: Header=BB8_104 Depth=3
	s_delay_alu instid0(VALU_DEP_1) | instskip(NEXT) | instid1(VALU_DEP_1)
	v_ashrrev_i32_e32 v18, 31, v17
	v_lshlrev_b64 v[17:18], 3, v[17:18]
	s_delay_alu instid0(VALU_DEP_1) | instskip(NEXT) | instid1(VALU_DEP_2)
	v_add_co_u32 v17, vcc_lo, s8, v17
	v_add_co_ci_u32_e32 v18, vcc_lo, s9, v18, vcc_lo
	s_and_b32 vcc_lo, exec_lo, s7
	global_load_b64 v[19:20], v[17:18], off
	s_cbranch_vccz .LBB8_114
; %bb.111:                              ;   in Loop: Header=BB8_104 Depth=3
	v_mad_u64_u32 v[17:18], null, v28, s14, v[12:13]
	s_cbranch_execnz .LBB8_103
	s_branch .LBB8_102
.LBB8_112:                              ;   in Loop: Header=BB8_104 Depth=3
                                        ; implicit-def: $vgpr15
	s_branch .LBB8_106
.LBB8_113:                              ;   in Loop: Header=BB8_104 Depth=3
                                        ; implicit-def: $vgpr17
	s_branch .LBB8_109
.LBB8_114:                              ;   in Loop: Header=BB8_104 Depth=3
                                        ; implicit-def: $vgpr17
	s_branch .LBB8_102
.LBB8_115:                              ;   in Loop: Header=BB8_94 Depth=2
                                        ; implicit-def: $vgpr13
	s_branch .LBB8_96
.LBB8_116:                              ;   in Loop: Header=BB8_94 Depth=2
                                        ; implicit-def: $vgpr15
	s_branch .LBB8_99
.LBB8_117:                              ;   in Loop: Header=BB8_84 Depth=1
	s_or_b32 exec_lo, exec_lo, s22
	s_delay_alu instid0(SALU_CYCLE_1)
	s_and_b32 s2, s16, exec_lo
	s_and_not1_b32 s17, s17, exec_lo
.LBB8_118:                              ;   in Loop: Header=BB8_84 Depth=1
	s_or_b32 exec_lo, exec_lo, s21
	s_delay_alu instid0(SALU_CYCLE_1) | instskip(SKIP_1) | instid1(SALU_CYCLE_1)
	s_and_not1_b32 s1, s16, exec_lo
	s_and_b32 s2, s2, exec_lo
	s_or_b32 s16, s1, s2
	s_and_saveexec_b32 s1, s17
	s_cbranch_execz .LBB8_83
; %bb.119:                              ;   in Loop: Header=BB8_84 Depth=1
	v_add_nc_u32_e32 v24, 1, v7
	s_or_b32 s16, s16, exec_lo
	s_branch .LBB8_83
.LBB8_120:
	s_or_b32 exec_lo, exec_lo, s6
	s_delay_alu instid0(SALU_CYCLE_1) | instskip(SKIP_1) | instid1(SALU_CYCLE_1)
	s_and_not1_b32 s0, s3, exec_lo
	s_and_b32 s1, s11, exec_lo
	s_or_b32 s3, s0, s1
.LBB8_121:
	s_or_b32 exec_lo, exec_lo, s5
	v_add_nc_u32_e32 v12, 1, v6
	s_mov_b32 s1, exec_lo
	s_delay_alu instid0(VALU_DEP_1)
	v_cmpx_lt_i32_e64 v12, v25
	s_cbranch_execz .LBB8_145
; %bb.122:
	v_mul_lo_u32 v13, v6, s14
	s_mul_i32 s2, s14, s14
	v_cmp_gt_i32_e64 s0, s14, v0
	v_mul_lo_u32 v6, s2, v12
	s_cmp_lg_u32 s20, 0
	s_mov_b32 s5, 0
	s_cselect_b32 s6, -1, 0
	s_add_i32 s7, s14, 1
	v_mad_u64_u32 v[4:5], null, s14, v13, s[14:15]
	s_delay_alu instid0(VALU_DEP_2)
	v_add3_u32 v14, v6, s14, v0
	s_branch .LBB8_124
.LBB8_123:                              ;   in Loop: Header=BB8_124 Depth=1
	v_add_nc_u32_e32 v12, 1, v12
	v_add_nc_u32_e32 v14, s2, v14
	s_delay_alu instid0(VALU_DEP_2) | instskip(SKIP_1) | instid1(SALU_CYCLE_1)
	v_cmp_ge_i32_e32 vcc_lo, v12, v25
	s_or_b32 s5, vcc_lo, s5
	s_and_not1_b32 exec_lo, exec_lo, s5
	s_cbranch_execz .LBB8_145
.LBB8_124:                              ; =>This Loop Header: Depth=1
                                        ;     Child Loop BB8_127 Depth 2
                                        ;       Child Loop BB8_130 Depth 3
                                        ;         Child Loop BB8_134 Depth 4
	s_and_not1_b32 vcc_lo, exec_lo, s4
	s_cbranch_vccnz .LBB8_123
; %bb.125:                              ;   in Loop: Header=BB8_124 Depth=1
	v_mul_lo_u32 v15, v12, s14
	s_delay_alu instid0(VALU_DEP_3)
	v_dual_mov_b32 v16, v14 :: v_dual_mov_b32 v17, v4
	s_mov_b32 s10, 0
	s_branch .LBB8_127
.LBB8_126:                              ;   in Loop: Header=BB8_127 Depth=2
	s_or_b32 exec_lo, exec_lo, s16
	v_add_nc_u32_e32 v17, s7, v17
	v_add_nc_u32_e32 v16, s14, v16
	s_cmp_eq_u32 s11, s14
	s_mov_b32 s10, s11
	s_cbranch_scc1 .LBB8_123
.LBB8_127:                              ;   Parent Loop BB8_124 Depth=1
                                        ; =>  This Loop Header: Depth=2
                                        ;       Child Loop BB8_130 Depth 3
                                        ;         Child Loop BB8_134 Depth 4
	s_add_i32 s11, s10, 1
	s_and_saveexec_b32 s16, s0
	s_cbranch_execz .LBB8_126
; %bb.128:                              ;   in Loop: Header=BB8_127 Depth=2
	v_dual_mov_b32 v20, v16 :: v_dual_add_nc_u32 v5, s10, v13
	v_dual_mov_b32 v21, v0 :: v_dual_add_nc_u32 v6, s10, v15
	s_cmp_lt_i32 s11, s14
	s_delay_alu instid0(VALU_DEP_2) | instskip(SKIP_1) | instid1(VALU_DEP_2)
	v_mul_lo_u32 v18, v5, s14
	s_cselect_b32 s17, -1, 0
	v_mul_lo_u32 v19, v6, s14
	s_mov_b32 s20, 0
	s_branch .LBB8_130
.LBB8_129:                              ;   in Loop: Header=BB8_130 Depth=3
	v_add_nc_u32_e32 v21, 32, v21
	v_add_nc_u32_e32 v20, 32, v20
	s_delay_alu instid0(VALU_DEP_2) | instskip(SKIP_1) | instid1(SALU_CYCLE_1)
	v_cmp_le_i32_e32 vcc_lo, s14, v21
	s_or_b32 s20, vcc_lo, s20
	s_and_not1_b32 exec_lo, exec_lo, s20
	s_cbranch_execz .LBB8_126
.LBB8_130:                              ;   Parent Loop BB8_124 Depth=1
                                        ;     Parent Loop BB8_127 Depth=2
                                        ; =>    This Loop Header: Depth=3
                                        ;         Child Loop BB8_134 Depth 4
	s_and_not1_b32 vcc_lo, exec_lo, s17
	s_cbranch_vccnz .LBB8_129
; %bb.131:                              ;   in Loop: Header=BB8_130 Depth=3
	v_add_nc_u32_e32 v5, v21, v15
	s_delay_alu instid0(VALU_DEP_2) | instskip(SKIP_2) | instid1(VALU_DEP_2)
	v_add_nc_u32_e32 v24, v21, v19
	s_mov_b32 s21, 0
	s_mov_b32 s22, s11
	v_mul_lo_u32 v22, v5, s14
	s_delay_alu instid0(VALU_DEP_1)
	v_add_nc_u32_e32 v23, s10, v22
	s_branch .LBB8_134
.LBB8_132:                              ;   in Loop: Header=BB8_134 Depth=4
	v_mov_b32_e32 v9, v26
.LBB8_133:                              ;   in Loop: Header=BB8_134 Depth=4
	s_waitcnt vmcnt(0)
	v_fma_f64 v[5:6], -v[5:6], v[7:8], v[10:11]
	s_delay_alu instid0(VALU_DEP_2) | instskip(SKIP_3) | instid1(VALU_DEP_1)
	v_ashrrev_i32_e32 v10, 31, v9
	s_add_i32 s22, s22, 1
	s_add_i32 s21, s21, s14
	s_cmp_ge_i32 s22, s14
	v_lshlrev_b64 v[7:8], 3, v[9:10]
	s_delay_alu instid0(VALU_DEP_1) | instskip(NEXT) | instid1(VALU_DEP_2)
	v_add_co_u32 v7, vcc_lo, s8, v7
	v_add_co_ci_u32_e32 v8, vcc_lo, s9, v8, vcc_lo
	global_store_b64 v[7:8], v[5:6], off
	s_cbranch_scc1 .LBB8_129
.LBB8_134:                              ;   Parent Loop BB8_124 Depth=1
                                        ;     Parent Loop BB8_127 Depth=2
                                        ;       Parent Loop BB8_130 Depth=3
                                        ; =>      This Inner Loop Header: Depth=4
	s_and_b32 vcc_lo, exec_lo, s6
	s_cbranch_vccz .LBB8_142
; %bb.135:                              ;   in Loop: Header=BB8_134 Depth=4
	v_add_nc_u32_e32 v5, s22, v18
	v_mov_b32_e32 v7, v23
	s_cbranch_execnz .LBB8_137
.LBB8_136:                              ;   in Loop: Header=BB8_134 Depth=4
	v_add_nc_u32_e32 v5, s21, v17
	v_mov_b32_e32 v7, v24
.LBB8_137:                              ;   in Loop: Header=BB8_134 Depth=4
	s_delay_alu instid0(VALU_DEP_2) | instskip(NEXT) | instid1(VALU_DEP_2)
	v_ashrrev_i32_e32 v6, 31, v5
	v_ashrrev_i32_e32 v8, 31, v7
	v_add_nc_u32_e32 v9, s22, v22
	s_delay_alu instid0(VALU_DEP_3) | instskip(NEXT) | instid1(VALU_DEP_3)
	v_lshlrev_b64 v[5:6], 3, v[5:6]
	v_lshlrev_b64 v[7:8], 3, v[7:8]
	s_delay_alu instid0(VALU_DEP_2) | instskip(NEXT) | instid1(VALU_DEP_3)
	v_add_co_u32 v5, vcc_lo, s8, v5
	v_add_co_ci_u32_e32 v6, vcc_lo, s9, v6, vcc_lo
	s_delay_alu instid0(VALU_DEP_3) | instskip(NEXT) | instid1(VALU_DEP_4)
	v_add_co_u32 v7, vcc_lo, s8, v7
	v_add_co_ci_u32_e32 v8, vcc_lo, s9, v8, vcc_lo
	s_and_b32 vcc_lo, exec_lo, s6
	s_clause 0x1
	global_load_b64 v[5:6], v[5:6], off
	global_load_b64 v[7:8], v[7:8], off
	s_cbranch_vccz .LBB8_143
; %bb.138:                              ;   in Loop: Header=BB8_134 Depth=4
	v_add_nc_u32_e32 v10, s22, v22
	v_add_nc_u32_e32 v26, s21, v20
	s_cbranch_execnz .LBB8_140
.LBB8_139:                              ;   in Loop: Header=BB8_134 Depth=4
	v_add_nc_u32_e32 v10, s21, v20
.LBB8_140:                              ;   in Loop: Header=BB8_134 Depth=4
	s_delay_alu instid0(VALU_DEP_1) | instskip(NEXT) | instid1(VALU_DEP_1)
	v_ashrrev_i32_e32 v11, 31, v10
	v_lshlrev_b64 v[10:11], 3, v[10:11]
	s_delay_alu instid0(VALU_DEP_1) | instskip(NEXT) | instid1(VALU_DEP_2)
	v_add_co_u32 v10, vcc_lo, s8, v10
	v_add_co_ci_u32_e32 v11, vcc_lo, s9, v11, vcc_lo
	s_and_b32 vcc_lo, exec_lo, s6
	global_load_b64 v[10:11], v[10:11], off
	s_cbranch_vccz .LBB8_144
; %bb.141:                              ;   in Loop: Header=BB8_134 Depth=4
	s_cbranch_execnz .LBB8_133
	s_branch .LBB8_132
.LBB8_142:                              ;   in Loop: Header=BB8_134 Depth=4
                                        ; implicit-def: $vgpr5
	s_delay_alu instid0(VALU_DEP_1)
	v_mov_b32_e32 v7, v23
	s_branch .LBB8_136
.LBB8_143:                              ;   in Loop: Header=BB8_134 Depth=4
                                        ; implicit-def: $vgpr10
	v_add_nc_u32_e32 v26, s21, v20
	s_branch .LBB8_139
.LBB8_144:                              ;   in Loop: Header=BB8_134 Depth=4
                                        ; implicit-def: $vgpr9
	s_branch .LBB8_132
.LBB8_145:
	s_or_b32 exec_lo, exec_lo, s1
	s_delay_alu instid0(SALU_CYCLE_1)
	s_or_not1_b32 s2, s3, exec_lo
.LBB8_146:
	s_or_b32 exec_lo, exec_lo, s15
	v_cmp_eq_u32_e32 vcc_lo, 0, v0
	s_and_b32 exec_lo, exec_lo, vcc_lo
	s_cbranch_execz .LBB8_152
; %bb.147:
	v_add_co_u32 v2, vcc_lo, s12, v2
	v_add_co_ci_u32_e32 v3, vcc_lo, s13, v3, vcc_lo
	v_mov_b32_e32 v0, 1
	s_waitcnt_vscnt null, 0x0
	global_store_b32 v[2:3], v0, off
	s_and_b32 exec_lo, exec_lo, s2
	s_cbranch_execz .LBB8_152
; %bb.148:
	v_add_nc_u32_e32 v0, s24, v1
	s_mov_b32 s1, exec_lo
	s_brev_b32 s0, -2
.LBB8_149:                              ; =>This Inner Loop Header: Depth=1
	s_ctz_i32_b32 s2, s1
	s_delay_alu instid0(VALU_DEP_1) | instid1(SALU_CYCLE_1)
	v_readlane_b32 s3, v0, s2
	s_lshl_b32 s2, 1, s2
	s_delay_alu instid0(SALU_CYCLE_1) | instskip(NEXT) | instid1(VALU_DEP_1)
	s_and_not1_b32 s1, s1, s2
	s_min_i32 s0, s0, s3
	s_cmp_lg_u32 s1, 0
	s_cbranch_scc1 .LBB8_149
; %bb.150:
	v_mbcnt_lo_u32_b32 v0, exec_lo, 0
	s_mov_b32 s1, exec_lo
	s_delay_alu instid0(VALU_DEP_1)
	v_cmpx_eq_u32_e32 0, v0
	s_xor_b32 s1, exec_lo, s1
	s_cbranch_execz .LBB8_152
; %bb.151:
	v_dual_mov_b32 v0, 0 :: v_dual_mov_b32 v1, s0
	global_atomic_min_i32 v0, v1, s[18:19]
.LBB8_152:
	s_nop 0
	s_sendmsg sendmsg(MSG_DEALLOC_VGPRS)
	s_endpgm
	.section	.rodata,"a",@progbits
	.p2align	6, 0x0
	.amdhsa_kernel _ZN9rocsparseL15bsrilu0_generalILj128ELj32ELb0EdEEv20rocsparse_direction_iPKiS3_PT2_S3_iPiS3_S6_21rocsparse_index_base_imNS_24const_host_device_scalarIfEENS8_IdEENS8_IS4_EEb
		.amdhsa_group_segment_fixed_size 0
		.amdhsa_private_segment_fixed_size 0
		.amdhsa_kernarg_size 116
		.amdhsa_user_sgpr_count 15
		.amdhsa_user_sgpr_dispatch_ptr 0
		.amdhsa_user_sgpr_queue_ptr 0
		.amdhsa_user_sgpr_kernarg_segment_ptr 1
		.amdhsa_user_sgpr_dispatch_id 0
		.amdhsa_user_sgpr_private_segment_size 0
		.amdhsa_wavefront_size32 1
		.amdhsa_uses_dynamic_stack 0
		.amdhsa_enable_private_segment 0
		.amdhsa_system_sgpr_workgroup_id_x 1
		.amdhsa_system_sgpr_workgroup_id_y 0
		.amdhsa_system_sgpr_workgroup_id_z 0
		.amdhsa_system_sgpr_workgroup_info 0
		.amdhsa_system_vgpr_workitem_id 0
		.amdhsa_next_free_vgpr 40
		.amdhsa_next_free_sgpr 44
		.amdhsa_reserve_vcc 1
		.amdhsa_float_round_mode_32 0
		.amdhsa_float_round_mode_16_64 0
		.amdhsa_float_denorm_mode_32 3
		.amdhsa_float_denorm_mode_16_64 3
		.amdhsa_dx10_clamp 1
		.amdhsa_ieee_mode 1
		.amdhsa_fp16_overflow 0
		.amdhsa_workgroup_processor_mode 1
		.amdhsa_memory_ordered 1
		.amdhsa_forward_progress 0
		.amdhsa_shared_vgpr_count 0
		.amdhsa_exception_fp_ieee_invalid_op 0
		.amdhsa_exception_fp_denorm_src 0
		.amdhsa_exception_fp_ieee_div_zero 0
		.amdhsa_exception_fp_ieee_overflow 0
		.amdhsa_exception_fp_ieee_underflow 0
		.amdhsa_exception_fp_ieee_inexact 0
		.amdhsa_exception_int_div_zero 0
	.end_amdhsa_kernel
	.section	.text._ZN9rocsparseL15bsrilu0_generalILj128ELj32ELb0EdEEv20rocsparse_direction_iPKiS3_PT2_S3_iPiS3_S6_21rocsparse_index_base_imNS_24const_host_device_scalarIfEENS8_IdEENS8_IS4_EEb,"axG",@progbits,_ZN9rocsparseL15bsrilu0_generalILj128ELj32ELb0EdEEv20rocsparse_direction_iPKiS3_PT2_S3_iPiS3_S6_21rocsparse_index_base_imNS_24const_host_device_scalarIfEENS8_IdEENS8_IS4_EEb,comdat
.Lfunc_end8:
	.size	_ZN9rocsparseL15bsrilu0_generalILj128ELj32ELb0EdEEv20rocsparse_direction_iPKiS3_PT2_S3_iPiS3_S6_21rocsparse_index_base_imNS_24const_host_device_scalarIfEENS8_IdEENS8_IS4_EEb, .Lfunc_end8-_ZN9rocsparseL15bsrilu0_generalILj128ELj32ELb0EdEEv20rocsparse_direction_iPKiS3_PT2_S3_iPiS3_S6_21rocsparse_index_base_imNS_24const_host_device_scalarIfEENS8_IdEENS8_IS4_EEb
                                        ; -- End function
	.section	.AMDGPU.csdata,"",@progbits
; Kernel info:
; codeLenInByte = 4368
; NumSgprs: 46
; NumVgprs: 40
; ScratchSize: 0
; MemoryBound: 0
; FloatMode: 240
; IeeeMode: 1
; LDSByteSize: 0 bytes/workgroup (compile time only)
; SGPRBlocks: 5
; VGPRBlocks: 4
; NumSGPRsForWavesPerEU: 46
; NumVGPRsForWavesPerEU: 40
; Occupancy: 16
; WaveLimiterHint : 1
; COMPUTE_PGM_RSRC2:SCRATCH_EN: 0
; COMPUTE_PGM_RSRC2:USER_SGPR: 15
; COMPUTE_PGM_RSRC2:TRAP_HANDLER: 0
; COMPUTE_PGM_RSRC2:TGID_X_EN: 1
; COMPUTE_PGM_RSRC2:TGID_Y_EN: 0
; COMPUTE_PGM_RSRC2:TGID_Z_EN: 0
; COMPUTE_PGM_RSRC2:TIDIG_COMP_CNT: 0
	.section	.text._ZN9rocsparseL11bsrilu0_2_8ILj64ELj64ELj8EdEEv20rocsparse_direction_iPKiS3_PT2_S3_iPiS3_S6_21rocsparse_index_base_imNS_24const_host_device_scalarIfEENS8_IdEENS8_IS4_EEb,"axG",@progbits,_ZN9rocsparseL11bsrilu0_2_8ILj64ELj64ELj8EdEEv20rocsparse_direction_iPKiS3_PT2_S3_iPiS3_S6_21rocsparse_index_base_imNS_24const_host_device_scalarIfEENS8_IdEENS8_IS4_EEb,comdat
	.globl	_ZN9rocsparseL11bsrilu0_2_8ILj64ELj64ELj8EdEEv20rocsparse_direction_iPKiS3_PT2_S3_iPiS3_S6_21rocsparse_index_base_imNS_24const_host_device_scalarIfEENS8_IdEENS8_IS4_EEb ; -- Begin function _ZN9rocsparseL11bsrilu0_2_8ILj64ELj64ELj8EdEEv20rocsparse_direction_iPKiS3_PT2_S3_iPiS3_S6_21rocsparse_index_base_imNS_24const_host_device_scalarIfEENS8_IdEENS8_IS4_EEb
	.p2align	8
	.type	_ZN9rocsparseL11bsrilu0_2_8ILj64ELj64ELj8EdEEv20rocsparse_direction_iPKiS3_PT2_S3_iPiS3_S6_21rocsparse_index_base_imNS_24const_host_device_scalarIfEENS8_IdEENS8_IS4_EEb,@function
_ZN9rocsparseL11bsrilu0_2_8ILj64ELj64ELj8EdEEv20rocsparse_direction_iPKiS3_PT2_S3_iPiS3_S6_21rocsparse_index_base_imNS_24const_host_device_scalarIfEENS8_IdEENS8_IS4_EEb: ; @_ZN9rocsparseL11bsrilu0_2_8ILj64ELj64ELj8EdEEv20rocsparse_direction_iPKiS3_PT2_S3_iPiS3_S6_21rocsparse_index_base_imNS_24const_host_device_scalarIfEENS8_IdEENS8_IS4_EEb
; %bb.0:
	s_mov_b32 s2, s15
	s_clause 0x2
	s_load_b32 s3, s[0:1], 0x70
	s_load_b64 s[20:21], s[0:1], 0x48
	s_load_b256 s[12:19], s[0:1], 0x50
	s_waitcnt lgkmcnt(0)
	s_bitcmp1_b32 s3, 0
	s_cselect_b32 s6, -1, 0
	s_cmp_lg_u32 s21, 0
	s_cselect_b32 s34, -1, 0
	s_cmp_eq_u32 s21, 0
	s_cselect_b32 s3, -1, 0
	s_delay_alu instid0(SALU_CYCLE_1) | instskip(SKIP_3) | instid1(SALU_CYCLE_1)
	s_and_b32 s4, s3, exec_lo
	s_cselect_b32 s4, 0, s16
	s_cselect_b32 s5, 0, s17
	s_or_b32 s6, s3, s6
	s_and_b32 vcc_lo, exec_lo, s6
	s_xor_b32 s6, s6, -1
	s_cbranch_vccnz .LBB9_2
; %bb.1:
	s_load_b32 s4, s[14:15], 0x0
	s_waitcnt lgkmcnt(0)
	v_mov_b32_e32 v14, s4
	s_mov_b64 s[4:5], s[16:17]
	s_branch .LBB9_3
.LBB9_2:
	v_cndmask_b32_e64 v14, s14, 0, s3
.LBB9_3:
	v_cndmask_b32_e64 v1, 0, 1, s6
	v_dual_mov_b32 v3, s4 :: v_dual_mov_b32 v4, s5
	s_and_not1_b32 vcc_lo, exec_lo, s6
	s_cbranch_vccnz .LBB9_5
; %bb.4:
	v_dual_mov_b32 v2, s16 :: v_dual_mov_b32 v3, s17
	flat_load_b64 v[3:4], v[2:3]
.LBB9_5:
	s_and_b32 s3, s3, exec_lo
	s_cselect_b32 s5, 0, s19
	v_cmp_ne_u32_e32 vcc_lo, 1, v1
	s_cselect_b32 s4, 0, s18
	s_mov_b32 s3, 0
	v_dual_mov_b32 v1, s4 :: v_dual_mov_b32 v2, s5
	s_cbranch_vccnz .LBB9_7
; %bb.6:
	v_dual_mov_b32 v1, s18 :: v_dual_mov_b32 v2, s19
	flat_load_b64 v[1:2], v[1:2]
.LBB9_7:
	s_clause 0x1
	s_load_b128 s[16:19], s[0:1], 0x30
	s_load_b64 s[14:15], s[0:1], 0x40
	s_lshl_b64 s[2:3], s[2:3], 2
	s_waitcnt lgkmcnt(0)
	s_add_u32 s2, s18, s2
	s_addc_u32 s3, s19, s3
	s_load_b32 s18, s[2:3], 0x0
	s_load_b256 s[4:11], s[0:1], 0x8
	s_waitcnt lgkmcnt(0)
	s_ashr_i32 s19, s18, 31
	s_delay_alu instid0(SALU_CYCLE_1) | instskip(NEXT) | instid1(SALU_CYCLE_1)
	s_lshl_b64 s[22:23], s[18:19], 2
	s_add_u32 s2, s10, s22
	s_addc_u32 s3, s11, s23
	s_load_b32 s24, s[2:3], 0x0
	s_waitcnt lgkmcnt(0)
	s_cmp_eq_u32 s24, -1
	s_cbranch_scc1 .LBB9_81
; %bb.8:
	s_add_u32 s2, s4, s22
	s_addc_u32 s3, s5, s23
	s_mov_b32 s19, 0
	s_load_b64 s[2:3], s[2:3], 0x0
	s_clause 0x1
	s_load_b64 s[26:27], s[0:1], 0x0
	s_load_b32 s21, s[0:1], 0x28
	s_waitcnt lgkmcnt(0)
	s_sub_i32 s28, s2, s20
	s_sub_i32 s33, s3, s20
	s_cmp_ge_i32 s28, s24
	s_cbranch_scc1 .LBB9_59
; %bb.9:
	v_bfe_u32 v16, v0, 10, 10
	v_and_b32_e32 v15, 0x3ff, v0
	s_cmp_eq_u32 s26, 0
	v_mov_b32_e32 v27, 0
	s_cselect_b32 vcc_lo, -1, 0
	v_mul_u32_u24_e32 v6, 9, v16
	v_lshlrev_b32_e32 v7, 3, v15
	s_cmp_gt_i32 s21, 0
	v_max_u32_e32 v5, v15, v16
	s_cselect_b32 s25, -1, 0
	v_dual_cndmask_b32 v6, v15, v16 :: v_dual_lshlrev_b32 v21, 3, v6
	s_add_u32 s30, s0, 0x78
	s_addc_u32 s31, s1, 0
	s_add_i32 s27, s27, 1
	v_mad_u32_u24 v18, 0x48, v16, v7
	s_cmp_lg_u32 s21, 1
	v_add_nc_u32_e32 v8, v21, v7
	s_cselect_b32 s35, -1, 0
	s_and_b32 s36, s21, 0x7ffffffe
	s_bitcmp1_b32 s21, 0
	v_mul_u32_u24_e32 v17, 0x48, v16
	v_cmp_eq_u32_e64 s2, 0, v16
	v_add_nc_u32_e32 v19, s28, v15
	v_cmp_gt_u32_e64 s3, s21, v5
	v_dual_cndmask_b32 v5, v16, v15 :: v_dual_add_nc_u32 v20, 0x240, v18
	s_cselect_b32 s37, -1, 0
	s_add_u32 s38, s4, 4
	v_add_nc_u32_e32 v22, 0x2d0, v8
	v_add_nc_u32_e32 v23, 0x288, v8
	;; [unrolled: 1-line block ×5, first 2 shown]
	s_addc_u32 s39, s5, 0
	s_add_u32 s40, s6, 0x100
	s_addc_u32 s41, s7, 0
	s_branch .LBB9_12
.LBB9_10:                               ;   in Loop: Header=BB9_12 Depth=1
	s_mov_b32 s19, -1
.LBB9_11:                               ;   in Loop: Header=BB9_12 Depth=1
	s_add_i32 s28, s28, 1
	s_delay_alu instid0(SALU_CYCLE_1) | instskip(SKIP_1) | instid1(SALU_CYCLE_1)
	s_cmp_lt_i32 s28, s24
	s_cselect_b32 s1, -1, 0
	s_and_b32 s0, s0, s1
	s_delay_alu instid0(SALU_CYCLE_1)
	s_and_b32 vcc_lo, exec_lo, s0
	s_cbranch_vccz .LBB9_59
.LBB9_12:                               ; =>This Loop Header: Depth=1
                                        ;     Child Loop BB9_16 Depth 2
                                        ;     Child Loop BB9_23 Depth 2
                                        ;     Child Loop BB9_43 Depth 2
                                        ;       Child Loop BB9_48 Depth 3
                                        ;       Child Loop BB9_56 Depth 3
	s_ashr_i32 s29, s28, 31
	v_mov_b32_e32 v7, 0
	s_lshl_b64 s[0:1], s[28:29], 2
	v_mov_b32_e32 v8, 0
	s_add_u32 s0, s6, s0
	s_addc_u32 s1, s7, s1
	global_load_b32 v9, v27, s[0:1]
	s_waitcnt vmcnt(0)
	v_readfirstlane_b32 s0, v9
	s_and_saveexec_b32 s1, s3
	s_cbranch_execz .LBB9_14
; %bb.13:                               ;   in Loop: Header=BB9_12 Depth=1
	v_mad_u64_u32 v[7:8], null, s28, s21, v[5:6]
	s_delay_alu instid0(VALU_DEP_1) | instskip(SKIP_1) | instid1(VALU_DEP_1)
	v_mad_u64_u32 v[8:9], null, v7, s21, v[6:7]
	v_mov_b32_e32 v9, v27
	v_lshlrev_b64 v[7:8], 3, v[8:9]
	s_delay_alu instid0(VALU_DEP_1) | instskip(NEXT) | instid1(VALU_DEP_2)
	v_add_co_u32 v7, vcc_lo, s8, v7
	v_add_co_ci_u32_e32 v8, vcc_lo, s9, v8, vcc_lo
	global_load_b64 v[7:8], v[7:8], off
.LBB9_14:                               ;   in Loop: Header=BB9_12 Depth=1
	s_or_b32 exec_lo, exec_lo, s1
	s_delay_alu instid0(VALU_DEP_1) | instskip(SKIP_3) | instid1(SALU_CYCLE_1)
	s_sub_i32 s0, s0, s20
	s_waitcnt vmcnt(0)
	ds_store_b64 v20, v[7:8]
	s_ashr_i32 s1, s0, 31
	s_lshl_b64 s[4:5], s[0:1], 2
	s_delay_alu instid0(SALU_CYCLE_1)
	s_add_u32 s0, s10, s4
	s_addc_u32 s1, s11, s5
	global_load_b32 v9, v27, s[0:1]
	s_waitcnt vmcnt(0)
	v_cmp_eq_u32_e32 vcc_lo, -1, v9
	v_readfirstlane_b32 s1, v9
	v_cmp_ne_u32_e64 s0, -1, v9
	s_cbranch_vccnz .LBB9_10
; %bb.15:                               ;   in Loop: Header=BB9_12 Depth=1
	s_add_u32 s42, s38, s4
	s_addc_u32 s43, s39, s5
	s_add_u32 s4, s16, s4
	global_load_b32 v7, v27, s[42:43]
	s_addc_u32 s5, s17, s5
	s_waitcnt vmcnt(0)
	v_readfirstlane_b32 s29, v7
.LBB9_16:                               ;   Parent Loop BB9_12 Depth=1
                                        ; =>  This Inner Loop Header: Depth=2
	global_load_b32 v7, v27, s[4:5] glc
	s_waitcnt vmcnt(0)
	v_cmp_eq_u32_e32 vcc_lo, 0, v7
	s_cbranch_vccnz .LBB9_16
; %bb.17:                               ;   in Loop: Header=BB9_12 Depth=1
	v_mov_b32_e32 v7, 0
	v_mov_b32_e32 v8, 0
	s_waitcnt lgkmcnt(0)
	buffer_gl1_inv
	buffer_gl0_inv
	s_and_saveexec_b32 s4, s3
	s_cbranch_execz .LBB9_19
; %bb.18:                               ;   in Loop: Header=BB9_12 Depth=1
	v_mad_u64_u32 v[7:8], null, s1, s21, v[5:6]
	s_delay_alu instid0(VALU_DEP_1) | instskip(SKIP_1) | instid1(VALU_DEP_1)
	v_mad_u64_u32 v[8:9], null, v7, s21, v[6:7]
	v_mov_b32_e32 v9, v27
	v_lshlrev_b64 v[7:8], 3, v[8:9]
	s_delay_alu instid0(VALU_DEP_1) | instskip(NEXT) | instid1(VALU_DEP_2)
	v_add_co_u32 v7, vcc_lo, s8, v7
	v_add_co_ci_u32_e32 v8, vcc_lo, s9, v8, vcc_lo
	global_load_b64 v[7:8], v[7:8], off
.LBB9_19:                               ;   in Loop: Header=BB9_12 Depth=1
	s_or_b32 exec_lo, exec_lo, s4
	s_delay_alu instid0(SALU_CYCLE_1)
	s_and_not1_b32 vcc_lo, exec_lo, s25
	s_waitcnt vmcnt(0)
	ds_store_b64 v18, v[7:8]
	s_waitcnt lgkmcnt(0)
	buffer_gl0_inv
	s_cbranch_vccnz .LBB9_37
; %bb.20:                               ;   in Loop: Header=BB9_12 Depth=1
	s_and_not1_b32 vcc_lo, exec_lo, s35
	s_mov_b32 s42, 0
	s_cbranch_vccnz .LBB9_31
; %bb.21:                               ;   in Loop: Header=BB9_12 Depth=1
	v_dual_mov_b32 v9, v26 :: v_dual_mov_b32 v10, v25
	v_dual_mov_b32 v11, v24 :: v_dual_mov_b32 v12, v23
	v_mov_b32_e32 v13, v22
	s_mov_b32 s4, 0
	s_mov_b32 s5, 0
	s_branch .LBB9_23
.LBB9_22:                               ;   in Loop: Header=BB9_23 Depth=2
	s_or_b32 exec_lo, exec_lo, s42
	v_add_nc_u32_e32 v13, 0x90, v13
	v_add_nc_u32_e32 v12, 0x90, v12
	;; [unrolled: 1-line block ×5, first 2 shown]
	s_add_i32 s5, s5, 2
	s_addk_i32 s4, 0xa0
	s_cmp_eq_u32 s36, s5
	s_mov_b32 s42, s36
	s_waitcnt lgkmcnt(0)
	buffer_gl0_inv
	s_cbranch_scc1 .LBB9_31
.LBB9_23:                               ;   Parent Loop BB9_12 Depth=1
                                        ; =>  This Inner Loop Header: Depth=2
	v_mov_b32_e32 v7, s4
	ds_load_b64 v[7:8], v7
	ds_load_b64 v[28:29], v11
	s_waitcnt lgkmcnt(0)
	buffer_gl0_inv
	v_div_scale_f64 v[30:31], null, v[7:8], v[7:8], v[28:29]
	s_delay_alu instid0(VALU_DEP_1) | instskip(SKIP_2) | instid1(VALU_DEP_1)
	v_rcp_f64_e32 v[32:33], v[30:31]
	s_waitcnt_depctr 0xfff
	v_fma_f64 v[34:35], -v[30:31], v[32:33], 1.0
	v_fma_f64 v[32:33], v[32:33], v[34:35], v[32:33]
	s_delay_alu instid0(VALU_DEP_1) | instskip(NEXT) | instid1(VALU_DEP_1)
	v_fma_f64 v[34:35], -v[30:31], v[32:33], 1.0
	v_fma_f64 v[32:33], v[32:33], v[34:35], v[32:33]
	v_div_scale_f64 v[34:35], vcc_lo, v[28:29], v[7:8], v[28:29]
	s_delay_alu instid0(VALU_DEP_1) | instskip(NEXT) | instid1(VALU_DEP_1)
	v_mul_f64 v[36:37], v[34:35], v[32:33]
	v_fma_f64 v[30:31], -v[30:31], v[36:37], v[34:35]
	s_delay_alu instid0(VALU_DEP_1) | instskip(NEXT) | instid1(VALU_DEP_1)
	v_div_fmas_f64 v[30:31], v[30:31], v[32:33], v[36:37]
	v_div_fixup_f64 v[7:8], v[30:31], v[7:8], v[28:29]
	s_and_saveexec_b32 s42, s2
	s_cbranch_execz .LBB9_25
; %bb.24:                               ;   in Loop: Header=BB9_23 Depth=2
	ds_store_b64 v11, v[7:8]
.LBB9_25:                               ;   in Loop: Header=BB9_23 Depth=2
	s_or_b32 exec_lo, exec_lo, s42
	v_add_nc_u32_e32 v28, s5, v16
	s_mov_b32 s42, exec_lo
	s_delay_alu instid0(VALU_DEP_1) | instskip(NEXT) | instid1(VALU_DEP_1)
	v_add_nc_u32_e32 v29, 1, v28
	v_cmpx_gt_i32_e64 s21, v29
	s_cbranch_execz .LBB9_27
; %bb.26:                               ;   in Loop: Header=BB9_23 Depth=2
	ds_load_b64 v[29:30], v9
	ds_load_b64 v[31:32], v12
	s_waitcnt lgkmcnt(0)
	v_fma_f64 v[7:8], -v[7:8], v[29:30], v[31:32]
	ds_store_b64 v12, v[7:8]
.LBB9_27:                               ;   in Loop: Header=BB9_23 Depth=2
	s_or_b32 exec_lo, exec_lo, s42
	v_mov_b32_e32 v7, s4
	s_waitcnt lgkmcnt(0)
	buffer_gl0_inv
	ds_load_b64 v[7:8], v7 offset:80
	ds_load_b64 v[29:30], v11 offset:72
	s_waitcnt lgkmcnt(0)
	buffer_gl0_inv
	v_div_scale_f64 v[31:32], null, v[7:8], v[7:8], v[29:30]
	s_delay_alu instid0(VALU_DEP_1) | instskip(SKIP_2) | instid1(VALU_DEP_1)
	v_rcp_f64_e32 v[33:34], v[31:32]
	s_waitcnt_depctr 0xfff
	v_fma_f64 v[35:36], -v[31:32], v[33:34], 1.0
	v_fma_f64 v[33:34], v[33:34], v[35:36], v[33:34]
	s_delay_alu instid0(VALU_DEP_1) | instskip(NEXT) | instid1(VALU_DEP_1)
	v_fma_f64 v[35:36], -v[31:32], v[33:34], 1.0
	v_fma_f64 v[33:34], v[33:34], v[35:36], v[33:34]
	v_div_scale_f64 v[35:36], vcc_lo, v[29:30], v[7:8], v[29:30]
	s_delay_alu instid0(VALU_DEP_1) | instskip(NEXT) | instid1(VALU_DEP_1)
	v_mul_f64 v[37:38], v[35:36], v[33:34]
	v_fma_f64 v[31:32], -v[31:32], v[37:38], v[35:36]
	s_delay_alu instid0(VALU_DEP_1) | instskip(NEXT) | instid1(VALU_DEP_1)
	v_div_fmas_f64 v[31:32], v[31:32], v[33:34], v[37:38]
	v_div_fixup_f64 v[7:8], v[31:32], v[7:8], v[29:30]
	s_and_saveexec_b32 s42, s2
	s_cbranch_execz .LBB9_29
; %bb.28:                               ;   in Loop: Header=BB9_23 Depth=2
	ds_store_b64 v11, v[7:8] offset:72
.LBB9_29:                               ;   in Loop: Header=BB9_23 Depth=2
	s_or_b32 exec_lo, exec_lo, s42
	v_add_nc_u32_e32 v28, 2, v28
	s_mov_b32 s42, exec_lo
	s_delay_alu instid0(VALU_DEP_1)
	v_cmpx_gt_i32_e64 s21, v28
	s_cbranch_execz .LBB9_22
; %bb.30:                               ;   in Loop: Header=BB9_23 Depth=2
	ds_load_b64 v[28:29], v10
	ds_load_b64 v[30:31], v13
	s_waitcnt lgkmcnt(0)
	v_fma_f64 v[7:8], -v[7:8], v[28:29], v[30:31]
	ds_store_b64 v13, v[7:8]
	s_branch .LBB9_22
.LBB9_31:                               ;   in Loop: Header=BB9_12 Depth=1
	s_and_not1_b32 vcc_lo, exec_lo, s37
	s_cbranch_vccnz .LBB9_37
; %bb.32:                               ;   in Loop: Header=BB9_12 Depth=1
	s_lshl_b32 s4, s42, 3
	s_mul_i32 s5, s42, 0x48
	s_delay_alu instid0(SALU_CYCLE_1)
	s_add_i32 s4, s5, s4
	v_lshl_add_u32 v13, v15, 3, s5
	v_mov_b32_e32 v7, s4
	ds_load_b64 v[7:8], v7
	ds_load_b64 v[9:10], v13 offset:576
	s_waitcnt lgkmcnt(0)
	buffer_gl0_inv
	v_div_scale_f64 v[11:12], null, v[7:8], v[7:8], v[9:10]
	s_delay_alu instid0(VALU_DEP_1) | instskip(SKIP_2) | instid1(VALU_DEP_1)
	v_rcp_f64_e32 v[28:29], v[11:12]
	s_waitcnt_depctr 0xfff
	v_fma_f64 v[30:31], -v[11:12], v[28:29], 1.0
	v_fma_f64 v[28:29], v[28:29], v[30:31], v[28:29]
	s_delay_alu instid0(VALU_DEP_1) | instskip(NEXT) | instid1(VALU_DEP_1)
	v_fma_f64 v[30:31], -v[11:12], v[28:29], 1.0
	v_fma_f64 v[28:29], v[28:29], v[30:31], v[28:29]
	v_div_scale_f64 v[30:31], vcc_lo, v[9:10], v[7:8], v[9:10]
	s_delay_alu instid0(VALU_DEP_1) | instskip(NEXT) | instid1(VALU_DEP_1)
	v_mul_f64 v[32:33], v[30:31], v[28:29]
	v_fma_f64 v[11:12], -v[11:12], v[32:33], v[30:31]
	s_delay_alu instid0(VALU_DEP_1) | instskip(NEXT) | instid1(VALU_DEP_1)
	v_div_fmas_f64 v[11:12], v[11:12], v[28:29], v[32:33]
	v_div_fixup_f64 v[7:8], v[11:12], v[7:8], v[9:10]
	v_add_nc_u32_e32 v9, 0x240, v13
	s_and_saveexec_b32 s5, s2
	s_cbranch_execz .LBB9_34
; %bb.33:                               ;   in Loop: Header=BB9_12 Depth=1
	ds_store_b64 v9, v[7:8]
.LBB9_34:                               ;   in Loop: Header=BB9_12 Depth=1
	s_or_b32 exec_lo, exec_lo, s5
	v_add3_u32 v10, s42, 1, v16
	s_mov_b32 s5, exec_lo
	s_delay_alu instid0(VALU_DEP_1)
	v_cmpx_gt_i32_e64 s21, v10
	s_cbranch_execz .LBB9_36
; %bb.35:                               ;   in Loop: Header=BB9_12 Depth=1
	v_add_nc_u32_e32 v10, s4, v21
	v_add_nc_u32_e32 v13, v9, v21
	ds_load_b64 v[9:10], v10 offset:72
	ds_load_b64 v[11:12], v13 offset:72
	s_waitcnt lgkmcnt(0)
	v_fma_f64 v[7:8], -v[7:8], v[9:10], v[11:12]
	ds_store_b64 v13, v[7:8] offset:72
.LBB9_36:                               ;   in Loop: Header=BB9_12 Depth=1
	s_or_b32 exec_lo, exec_lo, s5
	s_waitcnt lgkmcnt(0)
	buffer_gl0_inv
.LBB9_37:                               ;   in Loop: Header=BB9_12 Depth=1
	s_and_saveexec_b32 s4, s3
	s_cbranch_execz .LBB9_39
; %bb.38:                               ;   in Loop: Header=BB9_12 Depth=1
	v_mad_u64_u32 v[7:8], null, s28, s21, v[5:6]
	ds_load_b64 v[10:11], v20
	v_mad_u64_u32 v[8:9], null, v7, s21, v[6:7]
	v_mov_b32_e32 v9, v27
	s_delay_alu instid0(VALU_DEP_1) | instskip(NEXT) | instid1(VALU_DEP_1)
	v_lshlrev_b64 v[7:8], 3, v[8:9]
	v_add_co_u32 v7, vcc_lo, s8, v7
	s_delay_alu instid0(VALU_DEP_2)
	v_add_co_ci_u32_e32 v8, vcc_lo, s9, v8, vcc_lo
	s_waitcnt lgkmcnt(0)
	global_store_b64 v[7:8], v[10:11], off
.LBB9_39:                               ;   in Loop: Header=BB9_12 Depth=1
	s_or_b32 exec_lo, exec_lo, s4
	s_sub_i32 s29, s29, s20
	s_add_i32 s4, s1, 1
	s_delay_alu instid0(SALU_CYCLE_1)
	s_cmp_ge_i32 s4, s29
	s_cbranch_scc1 .LBB9_11
; %bb.40:                               ;   in Loop: Header=BB9_12 Depth=1
	s_load_b32 s1, s[30:31], 0xc
	s_waitcnt lgkmcnt(0)
	s_and_b32 s1, s1, 0xffff
	s_delay_alu instid0(SALU_CYCLE_1) | instskip(NEXT) | instid1(VALU_DEP_1)
	v_mad_u32_u24 v7, v16, s1, v19
	v_ashrrev_i32_e32 v8, 31, v7
	v_cmp_gt_i32_e64 s1, s33, v7
	s_delay_alu instid0(VALU_DEP_2) | instskip(NEXT) | instid1(VALU_DEP_1)
	v_lshlrev_b64 v[8:9], 2, v[7:8]
	v_add_co_u32 v8, vcc_lo, s6, v8
	s_delay_alu instid0(VALU_DEP_2)
	v_add_co_ci_u32_e32 v9, vcc_lo, s7, v9, vcc_lo
	s_branch .LBB9_43
.LBB9_41:                               ;   in Loop: Header=BB9_43 Depth=2
	s_or_b32 exec_lo, exec_lo, s5
.LBB9_42:                               ;   in Loop: Header=BB9_43 Depth=2
	s_add_i32 s4, s4, 1
	s_waitcnt_vscnt null, 0x0
	buffer_gl0_inv
	s_cmp_lt_i32 s4, s29
	s_cbranch_scc0 .LBB9_11
.LBB9_43:                               ;   Parent Loop BB9_12 Depth=1
                                        ; =>  This Loop Header: Depth=2
                                        ;       Child Loop BB9_48 Depth 3
                                        ;       Child Loop BB9_56 Depth 3
	s_ashr_i32 s5, s4, 31
	v_mov_b32_e32 v11, s27
	s_lshl_b64 s[42:43], s[4:5], 2
	s_delay_alu instid0(SALU_CYCLE_1)
	s_add_u32 s42, s6, s42
	s_addc_u32 s43, s7, s43
	global_load_b32 v10, v27, s[42:43]
	s_and_saveexec_b32 s5, s1
	s_cbranch_execz .LBB9_45
; %bb.44:                               ;   in Loop: Header=BB9_43 Depth=2
	global_load_b32 v11, v[8:9], off
	s_waitcnt vmcnt(0)
	v_subrev_nc_u32_e32 v11, s20, v11
.LBB9_45:                               ;   in Loop: Header=BB9_43 Depth=2
	s_or_b32 exec_lo, exec_lo, s5
	s_waitcnt vmcnt(0)
	v_subrev_nc_u32_e32 v12, s20, v10
	v_mov_b32_e32 v13, v7
	s_mov_b32 s5, exec_lo
	s_delay_alu instid0(VALU_DEP_2)
	v_cmpx_lt_i32_e64 v11, v12
	s_cbranch_execz .LBB9_51
; %bb.46:                               ;   in Loop: Header=BB9_43 Depth=2
	v_mov_b32_e32 v10, v7
	s_mov_b32 s42, 0
	s_branch .LBB9_48
	.p2align	6
.LBB9_47:                               ;   in Loop: Header=BB9_48 Depth=3
	s_or_b32 exec_lo, exec_lo, s43
	s_delay_alu instid0(VALU_DEP_1) | instskip(SKIP_2) | instid1(SALU_CYCLE_1)
	v_cmp_ge_i32_e32 vcc_lo, v11, v12
	v_mov_b32_e32 v10, v13
	s_or_b32 s42, vcc_lo, s42
	s_and_not1_b32 exec_lo, exec_lo, s42
	s_cbranch_execz .LBB9_50
.LBB9_48:                               ;   Parent Loop BB9_12 Depth=1
                                        ;     Parent Loop BB9_43 Depth=2
                                        ; =>    This Inner Loop Header: Depth=3
	s_delay_alu instid0(VALU_DEP_1) | instskip(SKIP_2) | instid1(VALU_DEP_2)
	v_add_nc_u32_e32 v13, 64, v10
	v_mov_b32_e32 v11, s27
	s_mov_b32 s43, exec_lo
	v_cmpx_gt_i32_e64 s33, v13
	s_cbranch_execz .LBB9_47
; %bb.49:                               ;   in Loop: Header=BB9_48 Depth=3
	v_ashrrev_i32_e32 v11, 31, v10
	s_delay_alu instid0(VALU_DEP_1) | instskip(NEXT) | instid1(VALU_DEP_1)
	v_lshlrev_b64 v[10:11], 2, v[10:11]
	v_add_co_u32 v10, vcc_lo, s40, v10
	s_delay_alu instid0(VALU_DEP_2)
	v_add_co_ci_u32_e32 v11, vcc_lo, s41, v11, vcc_lo
	global_load_b32 v10, v[10:11], off
	s_waitcnt vmcnt(0)
	v_subrev_nc_u32_e32 v11, s20, v10
	s_branch .LBB9_47
.LBB9_50:                               ;   in Loop: Header=BB9_43 Depth=2
	s_or_b32 exec_lo, exec_lo, s42
.LBB9_51:                               ;   in Loop: Header=BB9_43 Depth=2
	s_delay_alu instid0(SALU_CYCLE_1)
	s_or_b32 exec_lo, exec_lo, s5
	v_cmp_eq_u32_e32 vcc_lo, v11, v12
	s_cbranch_vccz .LBB9_42
; %bb.52:                               ;   in Loop: Header=BB9_43 Depth=2
	s_ctz_i32_b32 s5, vcc_lo
	s_delay_alu instid0(SALU_CYCLE_1) | instskip(NEXT) | instid1(SALU_CYCLE_1)
	s_lshl_b32 s5, s5, 2
	v_mov_b32_e32 v10, s5
	ds_bpermute_b32 v28, v10, v13
	v_mov_b32_e32 v10, 0
	v_mov_b32_e32 v11, 0
	s_delay_alu instid0(VALU_DEP_1)
	v_dual_mov_b32 v13, v11 :: v_dual_mov_b32 v12, v10
	s_and_saveexec_b32 s5, s3
	s_cbranch_execz .LBB9_54
; %bb.53:                               ;   in Loop: Header=BB9_43 Depth=2
	v_mad_u64_u32 v[12:13], null, s4, s21, v[5:6]
	s_delay_alu instid0(VALU_DEP_1) | instskip(SKIP_1) | instid1(VALU_DEP_1)
	v_mad_u64_u32 v[29:30], null, v12, s21, v[6:7]
	v_mov_b32_e32 v30, v27
	v_lshlrev_b64 v[12:13], 3, v[29:30]
	s_delay_alu instid0(VALU_DEP_1) | instskip(NEXT) | instid1(VALU_DEP_2)
	v_add_co_u32 v12, vcc_lo, s8, v12
	v_add_co_ci_u32_e32 v13, vcc_lo, s9, v13, vcc_lo
	global_load_b64 v[12:13], v[12:13], off
.LBB9_54:                               ;   in Loop: Header=BB9_43 Depth=2
	s_or_b32 exec_lo, exec_lo, s5
	s_delay_alu instid0(SALU_CYCLE_1)
	s_and_not1_b32 vcc_lo, exec_lo, s25
	s_waitcnt vmcnt(0)
	ds_store_b64 v18, v[12:13]
	s_waitcnt lgkmcnt(0)
	s_waitcnt_vscnt null, 0x0
	buffer_gl0_inv
	s_cbranch_vccnz .LBB9_57
; %bb.55:                               ;   in Loop: Header=BB9_43 Depth=2
	v_dual_mov_b32 v10, 0 :: v_dual_mov_b32 v13, v17
	v_dual_mov_b32 v11, 0 :: v_dual_mov_b32 v12, v24
	s_mov_b32 s5, s21
.LBB9_56:                               ;   Parent Loop BB9_12 Depth=1
                                        ;     Parent Loop BB9_43 Depth=2
                                        ; =>    This Inner Loop Header: Depth=3
	ds_load_b64 v[29:30], v12
	ds_load_b64 v[31:32], v13
	v_add_nc_u32_e32 v13, 8, v13
	v_add_nc_u32_e32 v12, 0x48, v12
	s_add_i32 s5, s5, -1
	s_delay_alu instid0(SALU_CYCLE_1)
	s_cmp_eq_u32 s5, 0
	s_waitcnt lgkmcnt(0)
	v_fma_f64 v[10:11], v[29:30], v[31:32], v[10:11]
	s_cbranch_scc0 .LBB9_56
.LBB9_57:                               ;   in Loop: Header=BB9_43 Depth=2
	s_and_saveexec_b32 s5, s3
	s_cbranch_execz .LBB9_41
; %bb.58:                               ;   in Loop: Header=BB9_43 Depth=2
	v_mad_u64_u32 v[12:13], null, v28, s21, v[5:6]
	s_delay_alu instid0(VALU_DEP_1) | instskip(SKIP_1) | instid1(VALU_DEP_1)
	v_mad_u64_u32 v[28:29], null, v12, s21, v[6:7]
	v_mov_b32_e32 v29, v27
	v_lshlrev_b64 v[12:13], 3, v[28:29]
	s_delay_alu instid0(VALU_DEP_1) | instskip(NEXT) | instid1(VALU_DEP_2)
	v_add_co_u32 v12, vcc_lo, s8, v12
	v_add_co_ci_u32_e32 v13, vcc_lo, s9, v13, vcc_lo
	global_load_b64 v[28:29], v[12:13], off
	s_waitcnt vmcnt(0)
	v_add_f64 v[10:11], v[28:29], -v[10:11]
	global_store_b64 v[12:13], v[10:11], off
	s_branch .LBB9_41
.LBB9_59:
	s_ashr_i32 s25, s24, 31
	v_mov_b32_e32 v5, 0
	s_lshl_b64 s[0:1], s[24:25], 2
	s_delay_alu instid0(SALU_CYCLE_1) | instskip(SKIP_4) | instid1(VALU_DEP_1)
	s_add_u32 s0, s6, s0
	s_addc_u32 s1, s7, s1
	global_load_b32 v5, v5, s[0:1]
	s_waitcnt vmcnt(0)
	v_subrev_nc_u32_e32 v5, s20, v5
	v_cmp_ne_u32_e32 vcc_lo, s18, v5
	s_cbranch_vccnz .LBB9_85
; %bb.60:
	v_and_b32_e32 v9, 0x3ff, v0
	v_bfe_u32 v10, v0, 10, 10
	v_mov_b32_e32 v5, 0
	v_mov_b32_e32 v6, 0
	s_delay_alu instid0(VALU_DEP_3) | instskip(NEXT) | instid1(VALU_DEP_1)
	v_max_u32_e32 v7, v9, v10
	v_cmp_gt_u32_e64 s0, s21, v7
	s_delay_alu instid0(VALU_DEP_1)
	s_and_saveexec_b32 s1, s0
	s_cbranch_execz .LBB9_62
; %bb.61:
	s_cmp_eq_u32 s26, 0
	s_cselect_b32 vcc_lo, -1, 0
	v_cndmask_b32_e32 v5, v10, v9, vcc_lo
	s_delay_alu instid0(VALU_DEP_1) | instskip(SKIP_1) | instid1(VALU_DEP_1)
	v_mad_u64_u32 v[6:7], null, s24, s21, v[5:6]
	v_cndmask_b32_e32 v5, v9, v10, vcc_lo
	v_mad_u64_u32 v[7:8], null, v6, s21, v[5:6]
	v_mov_b32_e32 v8, 0
	s_delay_alu instid0(VALU_DEP_1) | instskip(NEXT) | instid1(VALU_DEP_1)
	v_lshlrev_b64 v[5:6], 3, v[7:8]
	v_add_co_u32 v5, vcc_lo, s8, v5
	s_delay_alu instid0(VALU_DEP_2)
	v_add_co_ci_u32_e32 v6, vcc_lo, s9, v6, vcc_lo
	global_load_b64 v[5:6], v[5:6], off
.LBB9_62:
	s_or_b32 exec_lo, exec_lo, s1
	v_lshlrev_b32_e32 v7, 3, v9
	s_cmp_lt_i32 s21, 1
	s_delay_alu instid0(VALU_DEP_1)
	v_mad_u32_u24 v11, 0x48, v10, v7
	s_waitcnt vmcnt(0)
	ds_store_b64 v11, v[5:6]
	s_waitcnt lgkmcnt(0)
	s_waitcnt_vscnt null, 0x0
	buffer_gl0_inv
	s_cbranch_scc1 .LBB9_82
; %bb.63:
	v_cvt_f64_f32_e32 v[5:6], v14
	v_or_b32_e32 v7, v9, v10
	v_mul_u32_u24_e32 v8, 9, v10
	s_cmp_eq_u64 s[12:13], 8
	v_cmp_eq_u32_e64 s1, 0, v10
	s_cselect_b32 vcc_lo, -1, 0
	v_cmp_eq_u32_e64 s2, 0, v7
	v_lshlrev_b32_e32 v12, 3, v8
	s_mov_b32 s3, 0
	v_dual_cndmask_b32 v4, v6, v4 :: v_dual_cndmask_b32 v3, v5, v3
.LBB9_64:                               ; =>This Inner Loop Header: Depth=1
	s_lshl_b32 s4, s3, 3
	s_mul_i32 s5, s3, 0x48
	s_and_not1_b32 vcc_lo, exec_lo, s34
	s_add_i32 s4, s5, s4
	s_delay_alu instid0(SALU_CYCLE_1)
	v_mov_b32_e32 v5, s4
	s_waitcnt lgkmcnt(0)
	ds_load_b64 v[7:8], v5
	s_cbranch_vccnz .LBB9_68
; %bb.65:                               ;   in Loop: Header=BB9_64 Depth=1
	s_waitcnt lgkmcnt(0)
	v_cmp_gt_f64_e32 vcc_lo, 0, v[7:8]
	v_xor_b32_e32 v5, 0x80000000, v8
	buffer_gl0_inv
	v_dual_cndmask_b32 v6, v8, v5 :: v_dual_cndmask_b32 v5, v7, v7
	s_delay_alu instid0(VALU_DEP_1)
	v_cmp_le_f64_e32 vcc_lo, v[5:6], v[3:4]
	v_dual_cndmask_b32 v6, v8, v2 :: v_dual_cndmask_b32 v5, v7, v1
	s_and_saveexec_b32 s5, s2
	s_cbranch_execz .LBB9_67
; %bb.66:                               ;   in Loop: Header=BB9_64 Depth=1
	v_mov_b32_e32 v13, s4
	ds_store_b64 v13, v[5:6]
.LBB9_67:                               ;   in Loop: Header=BB9_64 Depth=1
	s_or_b32 exec_lo, exec_lo, s5
	s_mov_b32 s5, -1
	s_mov_b32 s6, 0
	s_cbranch_execz .LBB9_69
	s_branch .LBB9_70
.LBB9_68:                               ;   in Loop: Header=BB9_64 Depth=1
	s_mov_b32 s5, 0
                                        ; implicit-def: $vgpr5_vgpr6
	s_mov_b32 s6, 0
.LBB9_69:                               ;   in Loop: Header=BB9_64 Depth=1
	s_waitcnt lgkmcnt(0)
	v_cmp_neq_f64_e64 s5, 0, v[7:8]
	v_dual_mov_b32 v5, v7 :: v_dual_mov_b32 v6, v8
	s_mov_b32 s6, -1
.LBB9_70:                               ;   in Loop: Header=BB9_64 Depth=1
	s_delay_alu instid0(VALU_DEP_2)
	s_and_not1_b32 vcc_lo, exec_lo, s5
                                        ; implicit-def: $sgpr5
	s_cbranch_vccz .LBB9_73
; %bb.71:                               ;   in Loop: Header=BB9_64 Depth=1
	s_and_not1_b32 vcc_lo, exec_lo, s6
	s_cbranch_vccz .LBB9_79
.LBB9_72:                               ;   in Loop: Header=BB9_64 Depth=1
	s_cmp_eq_u32 s5, s21
	s_cbranch_scc0 .LBB9_80
	s_branch .LBB9_82
.LBB9_73:                               ;   in Loop: Header=BB9_64 Depth=1
	s_add_i32 s5, s3, 1
	s_mov_b32 s6, exec_lo
	s_waitcnt lgkmcnt(0)
	v_add_nc_u32_e32 v7, s5, v9
	s_delay_alu instid0(VALU_DEP_1)
	v_cmpx_gt_i32_e64 s21, v7
	s_cbranch_execz .LBB9_78
; %bb.74:                               ;   in Loop: Header=BB9_64 Depth=1
	v_lshl_add_u32 v7, v9, 3, s4
	ds_load_b64 v[13:14], v7 offset:8
	s_waitcnt lgkmcnt(0)
	buffer_gl0_inv
	v_div_scale_f64 v[15:16], null, v[5:6], v[5:6], v[13:14]
	s_delay_alu instid0(VALU_DEP_1) | instskip(SKIP_2) | instid1(VALU_DEP_1)
	v_rcp_f64_e32 v[17:18], v[15:16]
	s_waitcnt_depctr 0xfff
	v_fma_f64 v[19:20], -v[15:16], v[17:18], 1.0
	v_fma_f64 v[17:18], v[17:18], v[19:20], v[17:18]
	s_delay_alu instid0(VALU_DEP_1) | instskip(NEXT) | instid1(VALU_DEP_1)
	v_fma_f64 v[19:20], -v[15:16], v[17:18], 1.0
	v_fma_f64 v[17:18], v[17:18], v[19:20], v[17:18]
	v_div_scale_f64 v[19:20], vcc_lo, v[13:14], v[5:6], v[13:14]
	s_delay_alu instid0(VALU_DEP_1) | instskip(NEXT) | instid1(VALU_DEP_1)
	v_mul_f64 v[21:22], v[19:20], v[17:18]
	v_fma_f64 v[15:16], -v[15:16], v[21:22], v[19:20]
	s_delay_alu instid0(VALU_DEP_1) | instskip(NEXT) | instid1(VALU_DEP_1)
	v_div_fmas_f64 v[15:16], v[15:16], v[17:18], v[21:22]
	v_div_fixup_f64 v[5:6], v[15:16], v[5:6], v[13:14]
	s_and_saveexec_b32 s7, s1
	s_cbranch_execz .LBB9_76
; %bb.75:                               ;   in Loop: Header=BB9_64 Depth=1
	ds_store_b64 v7, v[5:6] offset:8
.LBB9_76:                               ;   in Loop: Header=BB9_64 Depth=1
	s_or_b32 exec_lo, exec_lo, s7
	v_add_nc_u32_e32 v8, s5, v10
	s_delay_alu instid0(VALU_DEP_1)
	v_cmp_gt_i32_e32 vcc_lo, s21, v8
	s_and_b32 exec_lo, exec_lo, vcc_lo
	s_cbranch_execz .LBB9_78
; %bb.77:                               ;   in Loop: Header=BB9_64 Depth=1
	v_add_nc_u32_e32 v8, s4, v12
	v_add_nc_u32_e32 v15, v7, v12
	ds_load_b64 v[7:8], v8 offset:72
	ds_load_b64 v[13:14], v15 offset:80
	s_waitcnt lgkmcnt(0)
	v_fma_f64 v[5:6], -v[5:6], v[7:8], v[13:14]
	ds_store_b64 v15, v[5:6] offset:80
.LBB9_78:                               ;   in Loop: Header=BB9_64 Depth=1
	s_or_b32 exec_lo, exec_lo, s6
	s_cbranch_execnz .LBB9_72
.LBB9_79:                               ;   in Loop: Header=BB9_64 Depth=1
	s_add_i32 s5, s3, 1
	s_mov_b32 s19, -1
	s_cmp_eq_u32 s5, s21
	s_cbranch_scc1 .LBB9_82
.LBB9_80:                               ;   in Loop: Header=BB9_64 Depth=1
	s_mov_b32 s3, s5
	s_branch .LBB9_64
.LBB9_81:
	s_mov_b32 s19, -1
	s_branch .LBB9_109
.LBB9_82:
	s_waitcnt lgkmcnt(0)
	buffer_gl0_inv
	s_and_saveexec_b32 s1, s0
	s_cbranch_execz .LBB9_84
; %bb.83:
	s_cmp_eq_u32 s26, 0
	s_cselect_b32 vcc_lo, -1, 0
	v_cndmask_b32_e32 v1, v10, v9, vcc_lo
	s_delay_alu instid0(VALU_DEP_1) | instskip(SKIP_1) | instid1(VALU_DEP_1)
	v_mad_u64_u32 v[2:3], null, s24, s21, v[1:2]
	v_cndmask_b32_e32 v1, v9, v10, vcc_lo
	v_mad_u64_u32 v[3:4], null, v2, s21, v[1:2]
	v_mov_b32_e32 v4, 0
	ds_load_b64 v[1:2], v11
	v_lshlrev_b64 v[3:4], 3, v[3:4]
	s_delay_alu instid0(VALU_DEP_1) | instskip(NEXT) | instid1(VALU_DEP_2)
	v_add_co_u32 v3, vcc_lo, s8, v3
	v_add_co_ci_u32_e32 v4, vcc_lo, s9, v4, vcc_lo
	s_waitcnt lgkmcnt(0)
	global_store_b64 v[3:4], v[1:2], off
.LBB9_84:
	s_or_b32 exec_lo, exec_lo, s1
.LBB9_85:
	s_add_i32 s1, s24, 1
	s_delay_alu instid0(SALU_CYCLE_1)
	s_cmp_ge_i32 s1, s33
	s_cbranch_scc1 .LBB9_109
; %bb.86:
	v_and_b32_e32 v3, 0x3ff, v0
	v_bfe_u32 v6, v0, 10, 10
	s_cmp_eq_u32 s26, 0
	s_movk_i32 s6, 0x240
	s_cselect_b32 vcc_lo, -1, 0
	v_lshlrev_b32_e32 v1, 3, v3
	v_mul_u32_u24_e32 v2, 0x48, v6
	v_max_u32_e32 v4, v3, v6
	s_cmp_gt_i32 s21, 0
	v_mad_u32_u24 v9, 0x48, v3, s6
	v_lshlrev_b32_e32 v8, 3, v6
	v_add3_u32 v7, v2, v1, 0x240
	v_cndmask_b32_e32 v2, v3, v6, vcc_lo
	v_cmp_gt_u32_e64 s0, s21, v4
	v_cndmask_b32_e32 v1, v6, v3, vcc_lo
	v_mul_u32_u24_e32 v4, 0x48, v3
	s_cselect_b32 s2, -1, 0
	s_add_i32 s4, s21, -1
	s_and_b32 s3, s21, 3
	s_cmp_gt_u32 s4, 2
	v_add_nc_u32_e32 v3, 8, v8
	s_cselect_b32 s4, -1, 0
	s_and_b32 s5, s21, 0x7ffffffc
	v_add3_u32 v10, v4, v8, 0x248
	v_mov_b32_e32 v11, 0
	s_cmp_lg_u32 s3, 0
	s_cselect_b32 s6, -1, 0
	s_branch .LBB9_88
.LBB9_87:                               ;   in Loop: Header=BB9_88 Depth=1
	s_or_b32 exec_lo, exec_lo, s7
	s_add_i32 s1, s1, 1
	s_delay_alu instid0(SALU_CYCLE_1)
	s_cmp_lt_i32 s1, s33
	s_cbranch_scc0 .LBB9_109
.LBB9_88:                               ; =>This Loop Header: Depth=1
                                        ;     Child Loop BB9_94 Depth 2
                                        ;     Child Loop BB9_105 Depth 2
	v_mov_b32_e32 v4, 0
	v_mov_b32_e32 v5, 0
	s_waitcnt lgkmcnt(0)
	s_waitcnt_vscnt null, 0x0
	buffer_gl0_inv
	s_and_saveexec_b32 s7, s0
	s_cbranch_execz .LBB9_90
; %bb.89:                               ;   in Loop: Header=BB9_88 Depth=1
	v_mad_u64_u32 v[4:5], null, s1, s21, v[1:2]
	s_delay_alu instid0(VALU_DEP_1) | instskip(SKIP_1) | instid1(VALU_DEP_1)
	v_mad_u64_u32 v[12:13], null, v4, s21, v[2:3]
	v_mov_b32_e32 v13, v11
	v_lshlrev_b64 v[4:5], 3, v[12:13]
	s_delay_alu instid0(VALU_DEP_1) | instskip(NEXT) | instid1(VALU_DEP_2)
	v_add_co_u32 v4, vcc_lo, s8, v4
	v_add_co_ci_u32_e32 v5, vcc_lo, s9, v5, vcc_lo
	global_load_b64 v[4:5], v[4:5], off
.LBB9_90:                               ;   in Loop: Header=BB9_88 Depth=1
	s_or_b32 exec_lo, exec_lo, s7
	s_delay_alu instid0(SALU_CYCLE_1)
	s_and_not1_b32 vcc_lo, exec_lo, s2
	s_waitcnt vmcnt(0)
	ds_store_b64 v7, v[4:5]
	s_waitcnt lgkmcnt(0)
	buffer_gl0_inv
	s_cbranch_vccnz .LBB9_107
; %bb.91:                               ;   in Loop: Header=BB9_88 Depth=1
	s_and_not1_b32 vcc_lo, exec_lo, s4
	s_mov_b32 s11, 0
	s_cbranch_vccnz .LBB9_102
; %bb.92:                               ;   in Loop: Header=BB9_88 Depth=1
	v_mov_b32_e32 v4, v9
	s_mov_b32 s7, 0
	s_mov_b32 s10, 8
	s_branch .LBB9_94
.LBB9_93:                               ;   in Loop: Header=BB9_94 Depth=2
	s_or_b32 exec_lo, exec_lo, s11
	v_add_nc_u32_e32 v4, 32, v4
	s_add_i32 s7, s7, 4
	s_addk_i32 s10, 0x140
	s_cmp_eq_u32 s5, s7
	s_mov_b32 s11, s5
	s_cbranch_scc1 .LBB9_102
.LBB9_94:                               ;   Parent Loop BB9_88 Depth=1
                                        ; =>  This Inner Loop Header: Depth=2
	v_add_nc_u32_e32 v13, s7, v6
	v_add_nc_u32_e32 v12, s10, v8
	s_delay_alu instid0(VALU_DEP_2) | instskip(NEXT) | instid1(VALU_DEP_1)
	v_add_nc_u32_e32 v5, 1, v13
	v_cmp_gt_i32_e32 vcc_lo, s21, v5
	v_add_nc_u32_e32 v5, v4, v8
	s_and_saveexec_b32 s11, vcc_lo
	s_cbranch_execz .LBB9_96
; %bb.95:                               ;   in Loop: Header=BB9_94 Depth=2
	ds_load_b64 v[14:15], v12
	ds_load_b64 v[16:17], v4
	ds_load_b64 v[18:19], v5 offset:8
	s_waitcnt lgkmcnt(0)
	v_fma_f64 v[14:15], -v[14:15], v[16:17], v[18:19]
	ds_store_b64 v5, v[14:15] offset:8
.LBB9_96:                               ;   in Loop: Header=BB9_94 Depth=2
	s_or_b32 exec_lo, exec_lo, s11
	v_add_nc_u32_e32 v14, 2, v13
	s_mov_b32 s11, exec_lo
	s_delay_alu instid0(VALU_DEP_1)
	v_cmpx_gt_i32_e64 s21, v14
	s_cbranch_execz .LBB9_98
; %bb.97:                               ;   in Loop: Header=BB9_94 Depth=2
	ds_load_b64 v[14:15], v12 offset:80
	ds_load_b64 v[16:17], v4 offset:8
	;; [unrolled: 1-line block ×3, first 2 shown]
	s_waitcnt lgkmcnt(0)
	v_fma_f64 v[14:15], -v[14:15], v[16:17], v[18:19]
	ds_store_b64 v5, v[14:15] offset:16
.LBB9_98:                               ;   in Loop: Header=BB9_94 Depth=2
	s_or_b32 exec_lo, exec_lo, s11
	v_add_nc_u32_e32 v14, 3, v13
	s_mov_b32 s11, exec_lo
	s_delay_alu instid0(VALU_DEP_1)
	v_cmpx_gt_i32_e64 s21, v14
	s_cbranch_execz .LBB9_100
; %bb.99:                               ;   in Loop: Header=BB9_94 Depth=2
	ds_load_b64 v[14:15], v12 offset:160
	ds_load_b64 v[16:17], v4 offset:16
	;; [unrolled: 1-line block ×3, first 2 shown]
	s_waitcnt lgkmcnt(0)
	v_fma_f64 v[14:15], -v[14:15], v[16:17], v[18:19]
	ds_store_b64 v5, v[14:15] offset:24
.LBB9_100:                              ;   in Loop: Header=BB9_94 Depth=2
	s_or_b32 exec_lo, exec_lo, s11
	v_add_nc_u32_e32 v13, 4, v13
	s_mov_b32 s11, exec_lo
	s_delay_alu instid0(VALU_DEP_1)
	v_cmpx_gt_i32_e64 s21, v13
	s_cbranch_execz .LBB9_93
; %bb.101:                              ;   in Loop: Header=BB9_94 Depth=2
	ds_load_b64 v[12:13], v12 offset:240
	ds_load_b64 v[14:15], v4 offset:24
	;; [unrolled: 1-line block ×3, first 2 shown]
	s_waitcnt lgkmcnt(0)
	v_fma_f64 v[12:13], -v[12:13], v[14:15], v[16:17]
	ds_store_b64 v5, v[12:13] offset:32
	s_branch .LBB9_93
.LBB9_102:                              ;   in Loop: Header=BB9_88 Depth=1
	s_and_not1_b32 vcc_lo, exec_lo, s6
	s_cbranch_vccnz .LBB9_107
; %bb.103:                              ;   in Loop: Header=BB9_88 Depth=1
	v_mad_u64_u32 v[4:5], null, 0x50, s11, v[3:4]
	s_lshl_b32 s7, s11, 3
	v_add_nc_u32_e32 v5, s11, v6
	v_add_nc_u32_e32 v12, s7, v10
	;; [unrolled: 1-line block ×3, first 2 shown]
	s_mov_b32 s7, s3
	s_branch .LBB9_105
	.p2align	6
.LBB9_104:                              ;   in Loop: Header=BB9_105 Depth=2
	s_or_b32 exec_lo, exec_lo, s10
	v_add_nc_u32_e32 v4, 0x50, v4
	v_add_nc_u32_e32 v12, 8, v12
	;; [unrolled: 1-line block ×3, first 2 shown]
	s_add_i32 s7, s7, -1
	s_delay_alu instid0(SALU_CYCLE_1)
	s_cmp_lg_u32 s7, 0
	s_cbranch_scc0 .LBB9_107
.LBB9_105:                              ;   Parent Loop BB9_88 Depth=1
                                        ; =>  This Inner Loop Header: Depth=2
	v_add_nc_u32_e32 v5, 1, v5
	s_mov_b32 s10, exec_lo
	s_delay_alu instid0(VALU_DEP_1)
	v_cmpx_gt_i32_e64 s21, v5
	s_cbranch_execz .LBB9_104
; %bb.106:                              ;   in Loop: Header=BB9_105 Depth=2
	ds_load_b64 v[14:15], v4
	ds_load_b64 v[16:17], v13
	ds_load_b64 v[18:19], v12
	s_waitcnt lgkmcnt(0)
	v_fma_f64 v[14:15], -v[14:15], v[16:17], v[18:19]
	ds_store_b64 v12, v[14:15]
	s_branch .LBB9_104
.LBB9_107:                              ;   in Loop: Header=BB9_88 Depth=1
	s_waitcnt lgkmcnt(0)
	buffer_gl0_inv
	s_and_saveexec_b32 s7, s0
	s_cbranch_execz .LBB9_87
; %bb.108:                              ;   in Loop: Header=BB9_88 Depth=1
	v_mad_u64_u32 v[4:5], null, s1, s21, v[1:2]
	s_delay_alu instid0(VALU_DEP_1) | instskip(SKIP_2) | instid1(VALU_DEP_1)
	v_mad_u64_u32 v[12:13], null, v4, s21, v[2:3]
	ds_load_b64 v[4:5], v7
	v_mov_b32_e32 v13, v11
	v_lshlrev_b64 v[12:13], 3, v[12:13]
	s_delay_alu instid0(VALU_DEP_1) | instskip(NEXT) | instid1(VALU_DEP_2)
	v_add_co_u32 v12, vcc_lo, s8, v12
	v_add_co_ci_u32_e32 v13, vcc_lo, s9, v13, vcc_lo
	s_waitcnt lgkmcnt(0)
	global_store_b64 v[12:13], v[4:5], off
	s_branch .LBB9_87
.LBB9_109:
	s_waitcnt vmcnt(0)
	v_and_b32_e32 v1, 0x3ff, v0
	v_bfe_u32 v0, v0, 10, 10
	s_mov_b32 s0, exec_lo
	s_delay_alu instid0(VALU_DEP_1) | instskip(NEXT) | instid1(VALU_DEP_1)
	v_or_b32_e32 v0, v1, v0
	v_cmpx_eq_u32_e32 0, v0
	s_cbranch_execz .LBB9_113
; %bb.110:
	v_dual_mov_b32 v0, 0 :: v_dual_mov_b32 v1, 1
	s_add_u32 s0, s16, s22
	s_addc_u32 s1, s17, s23
	s_and_not1_b32 vcc_lo, exec_lo, s19
	s_waitcnt_vscnt null, 0x0
	global_store_b32 v0, v1, s[0:1]
	s_cbranch_vccnz .LBB9_113
; %bb.111:
	v_mbcnt_lo_u32_b32 v0, exec_lo, 0
	s_delay_alu instid0(VALU_DEP_1)
	v_cmp_eq_u32_e32 vcc_lo, 0, v0
	s_and_b32 exec_lo, exec_lo, vcc_lo
	s_cbranch_execz .LBB9_113
; %bb.112:
	s_add_i32 s0, s18, s20
	s_delay_alu instid0(SALU_CYCLE_1)
	v_dual_mov_b32 v0, 0 :: v_dual_mov_b32 v1, s0
	global_atomic_min_i32 v0, v1, s[14:15]
.LBB9_113:
	s_nop 0
	s_sendmsg sendmsg(MSG_DEALLOC_VGPRS)
	s_endpgm
	.section	.rodata,"a",@progbits
	.p2align	6, 0x0
	.amdhsa_kernel _ZN9rocsparseL11bsrilu0_2_8ILj64ELj64ELj8EdEEv20rocsparse_direction_iPKiS3_PT2_S3_iPiS3_S6_21rocsparse_index_base_imNS_24const_host_device_scalarIfEENS8_IdEENS8_IS4_EEb
		.amdhsa_group_segment_fixed_size 1152
		.amdhsa_private_segment_fixed_size 0
		.amdhsa_kernarg_size 376
		.amdhsa_user_sgpr_count 15
		.amdhsa_user_sgpr_dispatch_ptr 0
		.amdhsa_user_sgpr_queue_ptr 0
		.amdhsa_user_sgpr_kernarg_segment_ptr 1
		.amdhsa_user_sgpr_dispatch_id 0
		.amdhsa_user_sgpr_private_segment_size 0
		.amdhsa_wavefront_size32 1
		.amdhsa_uses_dynamic_stack 0
		.amdhsa_enable_private_segment 0
		.amdhsa_system_sgpr_workgroup_id_x 1
		.amdhsa_system_sgpr_workgroup_id_y 0
		.amdhsa_system_sgpr_workgroup_id_z 0
		.amdhsa_system_sgpr_workgroup_info 0
		.amdhsa_system_vgpr_workitem_id 1
		.amdhsa_next_free_vgpr 39
		.amdhsa_next_free_sgpr 44
		.amdhsa_reserve_vcc 1
		.amdhsa_float_round_mode_32 0
		.amdhsa_float_round_mode_16_64 0
		.amdhsa_float_denorm_mode_32 3
		.amdhsa_float_denorm_mode_16_64 3
		.amdhsa_dx10_clamp 1
		.amdhsa_ieee_mode 1
		.amdhsa_fp16_overflow 0
		.amdhsa_workgroup_processor_mode 1
		.amdhsa_memory_ordered 1
		.amdhsa_forward_progress 0
		.amdhsa_shared_vgpr_count 0
		.amdhsa_exception_fp_ieee_invalid_op 0
		.amdhsa_exception_fp_denorm_src 0
		.amdhsa_exception_fp_ieee_div_zero 0
		.amdhsa_exception_fp_ieee_overflow 0
		.amdhsa_exception_fp_ieee_underflow 0
		.amdhsa_exception_fp_ieee_inexact 0
		.amdhsa_exception_int_div_zero 0
	.end_amdhsa_kernel
	.section	.text._ZN9rocsparseL11bsrilu0_2_8ILj64ELj64ELj8EdEEv20rocsparse_direction_iPKiS3_PT2_S3_iPiS3_S6_21rocsparse_index_base_imNS_24const_host_device_scalarIfEENS8_IdEENS8_IS4_EEb,"axG",@progbits,_ZN9rocsparseL11bsrilu0_2_8ILj64ELj64ELj8EdEEv20rocsparse_direction_iPKiS3_PT2_S3_iPiS3_S6_21rocsparse_index_base_imNS_24const_host_device_scalarIfEENS8_IdEENS8_IS4_EEb,comdat
.Lfunc_end9:
	.size	_ZN9rocsparseL11bsrilu0_2_8ILj64ELj64ELj8EdEEv20rocsparse_direction_iPKiS3_PT2_S3_iPiS3_S6_21rocsparse_index_base_imNS_24const_host_device_scalarIfEENS8_IdEENS8_IS4_EEb, .Lfunc_end9-_ZN9rocsparseL11bsrilu0_2_8ILj64ELj64ELj8EdEEv20rocsparse_direction_iPKiS3_PT2_S3_iPiS3_S6_21rocsparse_index_base_imNS_24const_host_device_scalarIfEENS8_IdEENS8_IS4_EEb
                                        ; -- End function
	.section	.AMDGPU.csdata,"",@progbits
; Kernel info:
; codeLenInByte = 4536
; NumSgprs: 46
; NumVgprs: 39
; ScratchSize: 0
; MemoryBound: 0
; FloatMode: 240
; IeeeMode: 1
; LDSByteSize: 1152 bytes/workgroup (compile time only)
; SGPRBlocks: 5
; VGPRBlocks: 4
; NumSGPRsForWavesPerEU: 46
; NumVGPRsForWavesPerEU: 39
; Occupancy: 16
; WaveLimiterHint : 1
; COMPUTE_PGM_RSRC2:SCRATCH_EN: 0
; COMPUTE_PGM_RSRC2:USER_SGPR: 15
; COMPUTE_PGM_RSRC2:TRAP_HANDLER: 0
; COMPUTE_PGM_RSRC2:TGID_X_EN: 1
; COMPUTE_PGM_RSRC2:TGID_Y_EN: 0
; COMPUTE_PGM_RSRC2:TGID_Z_EN: 0
; COMPUTE_PGM_RSRC2:TIDIG_COMP_CNT: 1
	.section	.text._ZN9rocsparseL12bsrilu0_9_32ILj64ELj64ELj16EdEEv20rocsparse_direction_iPKiS3_PT2_S3_iPiS3_S6_21rocsparse_index_base_imNS_24const_host_device_scalarIfEENS8_IdEENS8_IS4_EEb,"axG",@progbits,_ZN9rocsparseL12bsrilu0_9_32ILj64ELj64ELj16EdEEv20rocsparse_direction_iPKiS3_PT2_S3_iPiS3_S6_21rocsparse_index_base_imNS_24const_host_device_scalarIfEENS8_IdEENS8_IS4_EEb,comdat
	.globl	_ZN9rocsparseL12bsrilu0_9_32ILj64ELj64ELj16EdEEv20rocsparse_direction_iPKiS3_PT2_S3_iPiS3_S6_21rocsparse_index_base_imNS_24const_host_device_scalarIfEENS8_IdEENS8_IS4_EEb ; -- Begin function _ZN9rocsparseL12bsrilu0_9_32ILj64ELj64ELj16EdEEv20rocsparse_direction_iPKiS3_PT2_S3_iPiS3_S6_21rocsparse_index_base_imNS_24const_host_device_scalarIfEENS8_IdEENS8_IS4_EEb
	.p2align	8
	.type	_ZN9rocsparseL12bsrilu0_9_32ILj64ELj64ELj16EdEEv20rocsparse_direction_iPKiS3_PT2_S3_iPiS3_S6_21rocsparse_index_base_imNS_24const_host_device_scalarIfEENS8_IdEENS8_IS4_EEb,@function
_ZN9rocsparseL12bsrilu0_9_32ILj64ELj64ELj16EdEEv20rocsparse_direction_iPKiS3_PT2_S3_iPiS3_S6_21rocsparse_index_base_imNS_24const_host_device_scalarIfEENS8_IdEENS8_IS4_EEb: ; @_ZN9rocsparseL12bsrilu0_9_32ILj64ELj64ELj16EdEEv20rocsparse_direction_iPKiS3_PT2_S3_iPiS3_S6_21rocsparse_index_base_imNS_24const_host_device_scalarIfEENS8_IdEENS8_IS4_EEb
; %bb.0:
	s_clause 0x2
	s_load_b32 s3, s[0:1], 0x70
	s_load_b64 s[24:25], s[0:1], 0x48
	s_load_b256 s[16:23], s[0:1], 0x50
	s_mov_b32 s2, s15
	s_waitcnt lgkmcnt(0)
	s_bitcmp1_b32 s3, 0
	s_cselect_b32 s6, -1, 0
	s_cmp_lg_u32 s25, 0
	s_cselect_b32 s36, -1, 0
	s_cmp_eq_u32 s25, 0
	s_cselect_b32 s3, -1, 0
	s_delay_alu instid0(SALU_CYCLE_1) | instskip(SKIP_3) | instid1(SALU_CYCLE_1)
	s_and_b32 s4, s3, exec_lo
	s_cselect_b32 s4, 0, s20
	s_cselect_b32 s5, 0, s21
	s_or_b32 s6, s3, s6
	s_and_b32 vcc_lo, exec_lo, s6
	s_xor_b32 s6, s6, -1
	s_cbranch_vccnz .LBB10_2
; %bb.1:
	s_load_b32 s4, s[18:19], 0x0
	s_waitcnt lgkmcnt(0)
	v_mov_b32_e32 v14, s4
	s_mov_b64 s[4:5], s[20:21]
	s_branch .LBB10_3
.LBB10_2:
	v_cndmask_b32_e64 v14, s18, 0, s3
.LBB10_3:
	v_cndmask_b32_e64 v1, 0, 1, s6
	v_dual_mov_b32 v3, s4 :: v_dual_mov_b32 v4, s5
	s_and_not1_b32 vcc_lo, exec_lo, s6
	s_cbranch_vccnz .LBB10_5
; %bb.4:
	v_dual_mov_b32 v2, s20 :: v_dual_mov_b32 v3, s21
	flat_load_b64 v[3:4], v[2:3]
.LBB10_5:
	s_and_b32 s3, s3, exec_lo
	s_cselect_b32 s5, 0, s23
	v_cmp_ne_u32_e32 vcc_lo, 1, v1
	s_cselect_b32 s4, 0, s22
	s_mov_b32 s3, 0
	v_dual_mov_b32 v1, s4 :: v_dual_mov_b32 v2, s5
	s_cbranch_vccnz .LBB10_7
; %bb.6:
	v_dual_mov_b32 v1, s22 :: v_dual_mov_b32 v2, s23
	flat_load_b64 v[1:2], v[1:2]
.LBB10_7:
	s_clause 0x1
	s_load_b128 s[20:23], s[0:1], 0x30
	s_load_b64 s[18:19], s[0:1], 0x40
	s_lshl_b64 s[2:3], s[2:3], 2
	s_waitcnt lgkmcnt(0)
	s_add_u32 s2, s22, s2
	s_addc_u32 s3, s23, s3
	s_load_b32 s22, s[2:3], 0x0
	s_load_b256 s[8:15], s[0:1], 0x8
	s_waitcnt lgkmcnt(0)
	s_ashr_i32 s23, s22, 31
	s_delay_alu instid0(SALU_CYCLE_1) | instskip(NEXT) | instid1(SALU_CYCLE_1)
	s_lshl_b64 s[26:27], s[22:23], 2
	s_add_u32 s2, s14, s26
	s_addc_u32 s3, s15, s27
	s_load_b32 s28, s[2:3], 0x0
	s_waitcnt lgkmcnt(0)
	s_cmp_eq_u32 s28, -1
	s_cbranch_scc1 .LBB10_104
; %bb.8:
	s_add_u32 s2, s8, s26
	s_addc_u32 s3, s9, s27
	s_mov_b32 s23, 0
	s_load_b64 s[2:3], s[2:3], 0x0
	s_clause 0x1
	s_load_b64 s[30:31], s[0:1], 0x0
	s_load_b32 s25, s[0:1], 0x28
	s_waitcnt lgkmcnt(0)
	s_sub_i32 s34, s2, s24
	s_sub_i32 s33, s3, s24
	s_cmp_ge_i32 s34, s28
	s_cbranch_scc1 .LBB10_93
; %bb.9:
	v_bfe_u32 v15, v0, 10, 10
	v_dual_mov_b32 v24, 0 :: v_dual_and_b32 v5, 0x3ff, v0
	s_cmp_lg_u32 s30, 0
	s_mul_i32 s40, s25, s25
	s_delay_alu instid0(VALU_DEP_2) | instskip(NEXT) | instid1(VALU_DEP_2)
	v_lshlrev_b32_e32 v6, 4, v15
	v_lshlrev_b32_e32 v11, 3, v5
	s_cselect_b32 s29, -1, 0
	s_cmp_gt_i32 s25, 0
	v_cmp_gt_i32_e64 s0, s25, v5
	v_add3_u32 v6, v6, v5, s34
	v_mad_u32_u24 v17, 0x88, v15, v11
	s_cselect_b32 s37, -1, 0
	s_add_i32 s31, s31, 1
	v_cmp_le_i32_e64 s1, s25, v5
	v_ashrrev_i32_e32 v7, 31, v6
	v_mad_u64_u32 v[9:10], null, s25, s34, v[5:6]
	v_cmp_gt_i32_e64 s2, s25, v15
	v_cmp_eq_u32_e64 s3, 0, v15
	s_delay_alu instid0(VALU_DEP_4)
	v_lshlrev_b64 v[7:8], 2, v[6:7]
	v_add_nc_u32_e32 v16, 1, v15
	s_add_u32 s8, s8, 4
	v_cmp_gt_i32_e64 s4, s33, v6
	v_mul_lo_u32 v18, s25, v9
	v_mul_u32_u24_e32 v19, 0x88, v15
	v_add_co_u32 v7, vcc_lo, s10, v7
	v_add_co_ci_u32_e32 v8, vcc_lo, s11, v8, vcc_lo
	v_add_nc_u32_e32 v20, 0x880, v17
	v_add_nc_u32_e32 v21, 0x908, v17
	v_mad_u32_u24 v22, 0x88, v15, 0x88
	v_add_nc_u32_e32 v23, 0x880, v11
	s_addc_u32 s9, s9, 0
	s_add_u32 s38, s10, 0x100
	s_addc_u32 s39, s11, 0
	s_lshl_b32 s41, s25, 4
	s_branch .LBB10_12
.LBB10_10:                              ;   in Loop: Header=BB10_12 Depth=1
	s_mov_b32 s23, -1
.LBB10_11:                              ;   in Loop: Header=BB10_12 Depth=1
	s_add_i32 s34, s34, 1
	v_add_nc_u32_e32 v18, s40, v18
	s_cmp_lt_i32 s34, s28
	s_cselect_b32 s6, -1, 0
	s_delay_alu instid0(SALU_CYCLE_1) | instskip(NEXT) | instid1(SALU_CYCLE_1)
	s_and_b32 s5, s5, s6
	s_and_b32 vcc_lo, exec_lo, s5
	s_cbranch_vccz .LBB10_93
.LBB10_12:                              ; =>This Loop Header: Depth=1
                                        ;     Child Loop BB10_15 Depth 2
                                        ;       Child Loop BB10_18 Depth 3
                                        ;     Child Loop BB10_24 Depth 2
                                        ;     Child Loop BB10_28 Depth 2
                                        ;       Child Loop BB10_31 Depth 3
                                        ;     Child Loop BB10_38 Depth 2
                                        ;       Child Loop BB10_41 Depth 3
                                        ;         Child Loop BB10_45 Depth 4
                                        ;     Child Loop BB10_49 Depth 2
                                        ;       Child Loop BB10_52 Depth 3
                                        ;     Child Loop BB10_61 Depth 2
                                        ;       Child Loop BB10_66 Depth 3
                                        ;       Child Loop BB10_75 Depth 3
                                        ;         Child Loop BB10_78 Depth 4
                                        ;       Child Loop BB10_84 Depth 3
                                        ;         Child Loop BB10_87 Depth 4
                                        ;           Child Loop BB10_88 Depth 5
	s_ashr_i32 s35, s34, 31
	s_delay_alu instid0(SALU_CYCLE_1) | instskip(NEXT) | instid1(SALU_CYCLE_1)
	s_lshl_b64 s[6:7], s[34:35], 2
	s_add_u32 s6, s10, s6
	s_addc_u32 s7, s11, s7
	global_load_b32 v9, v24, s[6:7]
	s_waitcnt vmcnt(0)
	v_readfirstlane_b32 s5, v9
	s_and_saveexec_b32 s6, s0
	s_cbranch_execz .LBB10_22
; %bb.13:                               ;   in Loop: Header=BB10_12 Depth=1
	v_dual_mov_b32 v12, v20 :: v_dual_mov_b32 v13, v18
	v_mov_b32_e32 v9, v5
	s_mul_i32 s7, s34, s25
	s_mov_b32 s35, 0
	s_set_inst_prefetch_distance 0x1
	s_branch .LBB10_15
	.p2align	6
.LBB10_14:                              ;   in Loop: Header=BB10_15 Depth=2
	s_or_b32 exec_lo, exec_lo, s42
	v_add_nc_u32_e32 v9, 16, v9
	v_add_nc_u32_e32 v13, s41, v13
	;; [unrolled: 1-line block ×3, first 2 shown]
	s_delay_alu instid0(VALU_DEP_3) | instskip(SKIP_1) | instid1(SALU_CYCLE_1)
	v_cmp_le_i32_e32 vcc_lo, s25, v9
	s_or_b32 s35, vcc_lo, s35
	s_and_not1_b32 exec_lo, exec_lo, s35
	s_cbranch_execz .LBB10_22
.LBB10_15:                              ;   Parent Loop BB10_12 Depth=1
                                        ; =>  This Loop Header: Depth=2
                                        ;       Child Loop BB10_18 Depth 3
	s_and_saveexec_b32 s42, s2
	s_cbranch_execz .LBB10_14
; %bb.16:                               ;   in Loop: Header=BB10_15 Depth=2
	v_dual_mov_b32 v25, v12 :: v_dual_mov_b32 v26, v15
	s_mov_b32 s43, 0
	s_branch .LBB10_18
	.p2align	6
.LBB10_17:                              ;   in Loop: Header=BB10_18 Depth=3
	s_delay_alu instid0(VALU_DEP_1) | instskip(SKIP_1) | instid1(VALU_DEP_2)
	v_ashrrev_i32_e32 v11, 31, v10
	v_add_nc_u32_e32 v26, 4, v26
	v_lshlrev_b64 v[10:11], 3, v[10:11]
	s_delay_alu instid0(VALU_DEP_1) | instskip(NEXT) | instid1(VALU_DEP_2)
	v_add_co_u32 v10, vcc_lo, s12, v10
	v_add_co_ci_u32_e32 v11, vcc_lo, s13, v11, vcc_lo
	s_delay_alu instid0(VALU_DEP_4)
	v_cmp_le_i32_e32 vcc_lo, s25, v26
	global_load_b64 v[10:11], v[10:11], off
	s_or_b32 s43, vcc_lo, s43
	s_waitcnt vmcnt(0)
	ds_store_b64 v25, v[10:11]
	v_add_nc_u32_e32 v25, 0x220, v25
	s_and_not1_b32 exec_lo, exec_lo, s43
	s_cbranch_execz .LBB10_14
.LBB10_18:                              ;   Parent Loop BB10_12 Depth=1
                                        ;     Parent Loop BB10_15 Depth=2
                                        ; =>    This Inner Loop Header: Depth=3
	s_and_b32 vcc_lo, exec_lo, s29
	s_cbranch_vccz .LBB10_20
; %bb.19:                               ;   in Loop: Header=BB10_18 Depth=3
	v_add_nc_u32_e32 v27, s7, v26
	s_delay_alu instid0(VALU_DEP_1)
	v_mad_u64_u32 v[10:11], null, v27, s25, v[9:10]
	s_cbranch_execnz .LBB10_17
	s_branch .LBB10_21
	.p2align	6
.LBB10_20:                              ;   in Loop: Header=BB10_18 Depth=3
                                        ; implicit-def: $vgpr10
.LBB10_21:                              ;   in Loop: Header=BB10_18 Depth=3
	v_add_nc_u32_e32 v10, v13, v26
	s_branch .LBB10_17
.LBB10_22:                              ;   in Loop: Header=BB10_12 Depth=1
	s_set_inst_prefetch_distance 0x2
	s_or_b32 exec_lo, exec_lo, s6
	s_sub_i32 s6, s5, s24
	s_delay_alu instid0(SALU_CYCLE_1) | instskip(NEXT) | instid1(SALU_CYCLE_1)
	s_ashr_i32 s7, s6, 31
	s_lshl_b64 s[6:7], s[6:7], 2
	s_delay_alu instid0(SALU_CYCLE_1)
	s_add_u32 s42, s14, s6
	s_addc_u32 s43, s15, s7
	global_load_b32 v9, v24, s[42:43]
	s_waitcnt vmcnt(0)
	v_cmp_eq_u32_e32 vcc_lo, -1, v9
	v_readfirstlane_b32 s35, v9
	v_cmp_ne_u32_e64 s5, -1, v9
	s_cbranch_vccnz .LBB10_10
; %bb.23:                               ;   in Loop: Header=BB10_12 Depth=1
	s_add_u32 s42, s8, s6
	s_addc_u32 s43, s9, s7
	s_add_u32 s6, s20, s6
	global_load_b32 v9, v24, s[42:43]
	s_addc_u32 s7, s21, s7
	s_waitcnt vmcnt(0)
	v_readfirstlane_b32 s42, v9
.LBB10_24:                              ;   Parent Loop BB10_12 Depth=1
                                        ; =>  This Inner Loop Header: Depth=2
	global_load_b32 v9, v24, s[6:7] glc
	s_waitcnt vmcnt(0)
	v_cmp_eq_u32_e32 vcc_lo, 0, v9
	s_cbranch_vccnz .LBB10_24
; %bb.25:                               ;   in Loop: Header=BB10_12 Depth=1
	s_waitcnt lgkmcnt(0)
	buffer_gl1_inv
	buffer_gl0_inv
	s_and_saveexec_b32 s6, s0
	s_cbranch_execz .LBB10_35
; %bb.26:                               ;   in Loop: Header=BB10_12 Depth=1
	s_mul_i32 s7, s35, s25
	v_mov_b32_e32 v13, v17
	v_add_nc_u32_e32 v9, s7, v5
	s_mov_b32 s43, 0
	s_delay_alu instid0(VALU_DEP_1)
	v_mul_lo_u32 v12, s25, v9
	v_mov_b32_e32 v9, v5
	s_set_inst_prefetch_distance 0x1
	s_branch .LBB10_28
	.p2align	6
.LBB10_27:                              ;   in Loop: Header=BB10_28 Depth=2
	s_or_b32 exec_lo, exec_lo, s44
	v_add_nc_u32_e32 v9, 16, v9
	v_add_nc_u32_e32 v12, s41, v12
	;; [unrolled: 1-line block ×3, first 2 shown]
	s_delay_alu instid0(VALU_DEP_3) | instskip(SKIP_1) | instid1(SALU_CYCLE_1)
	v_cmp_le_i32_e32 vcc_lo, s25, v9
	s_or_b32 s43, vcc_lo, s43
	s_and_not1_b32 exec_lo, exec_lo, s43
	s_cbranch_execz .LBB10_35
.LBB10_28:                              ;   Parent Loop BB10_12 Depth=1
                                        ; =>  This Loop Header: Depth=2
                                        ;       Child Loop BB10_31 Depth 3
	s_and_saveexec_b32 s44, s2
	s_cbranch_execz .LBB10_27
; %bb.29:                               ;   in Loop: Header=BB10_28 Depth=2
	v_dual_mov_b32 v25, v13 :: v_dual_mov_b32 v26, v15
	s_mov_b32 s45, 0
	s_branch .LBB10_31
	.p2align	6
.LBB10_30:                              ;   in Loop: Header=BB10_31 Depth=3
	s_delay_alu instid0(VALU_DEP_1) | instskip(SKIP_1) | instid1(VALU_DEP_2)
	v_ashrrev_i32_e32 v11, 31, v10
	v_add_nc_u32_e32 v26, 4, v26
	v_lshlrev_b64 v[10:11], 3, v[10:11]
	s_delay_alu instid0(VALU_DEP_1) | instskip(NEXT) | instid1(VALU_DEP_2)
	v_add_co_u32 v10, vcc_lo, s12, v10
	v_add_co_ci_u32_e32 v11, vcc_lo, s13, v11, vcc_lo
	s_delay_alu instid0(VALU_DEP_4)
	v_cmp_le_i32_e32 vcc_lo, s25, v26
	global_load_b64 v[10:11], v[10:11], off
	s_or_b32 s45, vcc_lo, s45
	s_waitcnt vmcnt(0)
	ds_store_b64 v25, v[10:11]
	v_add_nc_u32_e32 v25, 0x220, v25
	s_and_not1_b32 exec_lo, exec_lo, s45
	s_cbranch_execz .LBB10_27
.LBB10_31:                              ;   Parent Loop BB10_12 Depth=1
                                        ;     Parent Loop BB10_28 Depth=2
                                        ; =>    This Inner Loop Header: Depth=3
	s_and_b32 vcc_lo, exec_lo, s29
	s_cbranch_vccz .LBB10_33
; %bb.32:                               ;   in Loop: Header=BB10_31 Depth=3
	v_add_nc_u32_e32 v27, s7, v26
	s_delay_alu instid0(VALU_DEP_1)
	v_mad_u64_u32 v[10:11], null, v27, s25, v[9:10]
	s_cbranch_execnz .LBB10_30
	s_branch .LBB10_34
	.p2align	6
.LBB10_33:                              ;   in Loop: Header=BB10_31 Depth=3
                                        ; implicit-def: $vgpr10
.LBB10_34:                              ;   in Loop: Header=BB10_31 Depth=3
	v_add_nc_u32_e32 v10, v12, v26
	s_branch .LBB10_30
.LBB10_35:                              ;   in Loop: Header=BB10_12 Depth=1
	s_set_inst_prefetch_distance 0x2
	s_or_b32 exec_lo, exec_lo, s6
	s_delay_alu instid0(SALU_CYCLE_1)
	s_and_not1_b32 vcc_lo, exec_lo, s37
	s_waitcnt lgkmcnt(0)
	buffer_gl0_inv
	s_cbranch_vccnz .LBB10_46
; %bb.36:                               ;   in Loop: Header=BB10_12 Depth=1
	v_mov_b32_e32 v13, v22
	v_mov_b32_e32 v25, v21
	s_mov_b32 s7, 0
	s_branch .LBB10_38
.LBB10_37:                              ;   in Loop: Header=BB10_38 Depth=2
	s_or_b32 exec_lo, exec_lo, s43
	v_add_nc_u32_e32 v25, 0x88, v25
	v_add_nc_u32_e32 v13, 0x90, v13
	s_add_i32 s7, s7, 1
	s_waitcnt lgkmcnt(0)
	buffer_gl0_inv
	s_cmp_eq_u32 s7, s25
	s_cbranch_scc1 .LBB10_46
.LBB10_38:                              ;   Parent Loop BB10_12 Depth=1
                                        ; =>  This Loop Header: Depth=2
                                        ;       Child Loop BB10_41 Depth 3
                                        ;         Child Loop BB10_45 Depth 4
	s_and_saveexec_b32 s43, s0
	s_cbranch_execz .LBB10_37
; %bb.39:                               ;   in Loop: Header=BB10_38 Depth=2
	s_lshl_b32 s6, s7, 3
	s_mul_i32 s44, s7, 0x88
	v_mov_b32_e32 v27, v25
	s_add_i32 s6, s44, s6
	s_delay_alu instid0(SALU_CYCLE_1) | instskip(SKIP_2) | instid1(VALU_DEP_2)
	v_dual_mov_b32 v9, s6 :: v_dual_add_nc_u32 v26, s7, v16
	v_mov_b32_e32 v28, v5
	s_mov_b32 s45, 0
	v_cmp_gt_i32_e64 s6, s25, v26
	ds_load_b64 v[9:10], v9
	s_branch .LBB10_41
.LBB10_40:                              ;   in Loop: Header=BB10_41 Depth=3
	s_or_b32 exec_lo, exec_lo, s46
	v_add_nc_u32_e32 v28, 16, v28
	v_add_nc_u32_e32 v27, 0x80, v27
	s_delay_alu instid0(VALU_DEP_2) | instskip(SKIP_1) | instid1(SALU_CYCLE_1)
	v_cmp_le_i32_e32 vcc_lo, s25, v28
	s_or_b32 s45, vcc_lo, s45
	s_and_not1_b32 exec_lo, exec_lo, s45
	s_cbranch_execz .LBB10_37
.LBB10_41:                              ;   Parent Loop BB10_12 Depth=1
                                        ;     Parent Loop BB10_38 Depth=2
                                        ; =>    This Loop Header: Depth=3
                                        ;         Child Loop BB10_45 Depth 4
	v_lshl_add_u32 v29, v28, 3, s44
	ds_load_b64 v[11:12], v29 offset:2176
	s_waitcnt lgkmcnt(0)
	buffer_gl0_inv
	v_div_scale_f64 v[30:31], null, v[9:10], v[9:10], v[11:12]
	s_delay_alu instid0(VALU_DEP_1) | instskip(SKIP_2) | instid1(VALU_DEP_1)
	v_rcp_f64_e32 v[32:33], v[30:31]
	s_waitcnt_depctr 0xfff
	v_fma_f64 v[34:35], -v[30:31], v[32:33], 1.0
	v_fma_f64 v[32:33], v[32:33], v[34:35], v[32:33]
	s_delay_alu instid0(VALU_DEP_1) | instskip(NEXT) | instid1(VALU_DEP_1)
	v_fma_f64 v[34:35], -v[30:31], v[32:33], 1.0
	v_fma_f64 v[32:33], v[32:33], v[34:35], v[32:33]
	v_div_scale_f64 v[34:35], vcc_lo, v[11:12], v[9:10], v[11:12]
	s_delay_alu instid0(VALU_DEP_1) | instskip(NEXT) | instid1(VALU_DEP_1)
	v_mul_f64 v[36:37], v[34:35], v[32:33]
	v_fma_f64 v[30:31], -v[30:31], v[36:37], v[34:35]
	s_delay_alu instid0(VALU_DEP_1) | instskip(NEXT) | instid1(VALU_DEP_1)
	v_div_fmas_f64 v[30:31], v[30:31], v[32:33], v[36:37]
	v_div_fixup_f64 v[11:12], v[30:31], v[9:10], v[11:12]
	s_and_saveexec_b32 s46, s3
	s_cbranch_execz .LBB10_43
; %bb.42:                               ;   in Loop: Header=BB10_41 Depth=3
	v_add_nc_u32_e32 v29, 0x880, v29
	ds_store_b64 v29, v[11:12]
.LBB10_43:                              ;   in Loop: Header=BB10_41 Depth=3
	s_or_b32 exec_lo, exec_lo, s46
	s_and_saveexec_b32 s46, s6
	s_cbranch_execz .LBB10_40
; %bb.44:                               ;   in Loop: Header=BB10_41 Depth=3
	v_dual_mov_b32 v29, v13 :: v_dual_mov_b32 v30, v27
	v_mov_b32_e32 v31, v26
	s_mov_b32 s47, 0
	.p2align	6
.LBB10_45:                              ;   Parent Loop BB10_12 Depth=1
                                        ;     Parent Loop BB10_38 Depth=2
                                        ;       Parent Loop BB10_41 Depth=3
                                        ; =>      This Inner Loop Header: Depth=4
	ds_load_b64 v[32:33], v29
	ds_load_b64 v[34:35], v30
	v_add_nc_u32_e32 v31, 4, v31
	v_add_nc_u32_e32 v29, 0x220, v29
	s_delay_alu instid0(VALU_DEP_2)
	v_cmp_le_i32_e32 vcc_lo, s25, v31
	s_or_b32 s47, vcc_lo, s47
	s_waitcnt lgkmcnt(0)
	v_fma_f64 v[32:33], -v[11:12], v[32:33], v[34:35]
	ds_store_b64 v30, v[32:33]
	v_add_nc_u32_e32 v30, 0x220, v30
	s_and_not1_b32 exec_lo, exec_lo, s47
	s_cbranch_execnz .LBB10_45
	s_branch .LBB10_40
.LBB10_46:                              ;   in Loop: Header=BB10_12 Depth=1
	s_and_saveexec_b32 s7, s0
	s_cbranch_execz .LBB10_56
; %bb.47:                               ;   in Loop: Header=BB10_12 Depth=1
	v_dual_mov_b32 v25, v20 :: v_dual_mov_b32 v26, v18
	v_mov_b32_e32 v9, v5
	s_mul_i32 s43, s34, s25
	s_mov_b32 s44, 0
	s_set_inst_prefetch_distance 0x1
	s_branch .LBB10_49
	.p2align	6
.LBB10_48:                              ;   in Loop: Header=BB10_49 Depth=2
	s_or_b32 exec_lo, exec_lo, s45
	v_add_nc_u32_e32 v9, 16, v9
	v_add_nc_u32_e32 v26, s41, v26
	;; [unrolled: 1-line block ×3, first 2 shown]
	s_delay_alu instid0(VALU_DEP_3) | instskip(SKIP_1) | instid1(SALU_CYCLE_1)
	v_cmp_le_i32_e32 vcc_lo, s25, v9
	s_or_b32 s44, vcc_lo, s44
	s_and_not1_b32 exec_lo, exec_lo, s44
	s_cbranch_execz .LBB10_56
.LBB10_49:                              ;   Parent Loop BB10_12 Depth=1
                                        ; =>  This Loop Header: Depth=2
                                        ;       Child Loop BB10_52 Depth 3
	s_and_saveexec_b32 s45, s2
	s_cbranch_execz .LBB10_48
; %bb.50:                               ;   in Loop: Header=BB10_49 Depth=2
	v_dual_mov_b32 v27, v25 :: v_dual_mov_b32 v28, v15
	s_mov_b32 s46, 0
	s_branch .LBB10_52
	.p2align	6
.LBB10_51:                              ;   in Loop: Header=BB10_52 Depth=3
	s_delay_alu instid0(VALU_DEP_1) | instskip(SKIP_2) | instid1(VALU_DEP_3)
	v_ashrrev_i32_e32 v13, 31, v12
	v_add_nc_u32_e32 v28, 4, v28
	v_add_nc_u32_e32 v27, 0x220, v27
	v_lshlrev_b64 v[12:13], 3, v[12:13]
	s_delay_alu instid0(VALU_DEP_3) | instskip(SKIP_1) | instid1(VALU_DEP_2)
	v_cmp_le_i32_e32 vcc_lo, s25, v28
	s_or_b32 s46, vcc_lo, s46
	v_add_co_u32 v12, s6, s12, v12
	s_delay_alu instid0(VALU_DEP_1)
	v_add_co_ci_u32_e64 v13, s6, s13, v13, s6
	s_waitcnt lgkmcnt(0)
	global_store_b64 v[12:13], v[10:11], off
	s_and_not1_b32 exec_lo, exec_lo, s46
	s_cbranch_execz .LBB10_48
.LBB10_52:                              ;   Parent Loop BB10_12 Depth=1
                                        ;     Parent Loop BB10_49 Depth=2
                                        ; =>    This Inner Loop Header: Depth=3
	ds_load_b64 v[10:11], v27
	s_and_b32 vcc_lo, exec_lo, s29
	s_cbranch_vccz .LBB10_54
; %bb.53:                               ;   in Loop: Header=BB10_52 Depth=3
	v_add_nc_u32_e32 v29, s43, v28
	s_waitcnt lgkmcnt(0)
	s_delay_alu instid0(VALU_DEP_1)
	v_mad_u64_u32 v[12:13], null, v29, s25, v[9:10]
	s_cbranch_execnz .LBB10_51
	s_branch .LBB10_55
	.p2align	6
.LBB10_54:                              ;   in Loop: Header=BB10_52 Depth=3
                                        ; implicit-def: $vgpr12
.LBB10_55:                              ;   in Loop: Header=BB10_52 Depth=3
	v_add_nc_u32_e32 v12, v26, v28
	s_branch .LBB10_51
.LBB10_56:                              ;   in Loop: Header=BB10_12 Depth=1
	s_set_inst_prefetch_distance 0x2
	s_or_b32 exec_lo, exec_lo, s7
	s_sub_i32 s42, s42, s24
	s_add_i32 s6, s35, 1
	s_delay_alu instid0(SALU_CYCLE_1)
	s_cmp_ge_i32 s6, s42
	s_cbranch_scc1 .LBB10_11
; %bb.57:                               ;   in Loop: Header=BB10_12 Depth=1
	v_mad_u64_u32 v[9:10], null, s25, s6, v[5:6]
	s_delay_alu instid0(VALU_DEP_1)
	v_mul_lo_u32 v25, s25, v9
	s_branch .LBB10_61
.LBB10_58:                              ;   in Loop: Header=BB10_61 Depth=2
	s_or_b32 exec_lo, exec_lo, s35
.LBB10_59:                              ;   in Loop: Header=BB10_61 Depth=2
	s_delay_alu instid0(SALU_CYCLE_1)
	s_or_b32 exec_lo, exec_lo, s7
.LBB10_60:                              ;   in Loop: Header=BB10_61 Depth=2
	v_add_nc_u32_e32 v25, s40, v25
	s_add_i32 s6, s6, 1
	s_waitcnt lgkmcnt(0)
	s_waitcnt_vscnt null, 0x0
	buffer_gl0_inv
	s_cmp_lt_i32 s6, s42
	s_cbranch_scc0 .LBB10_11
.LBB10_61:                              ;   Parent Loop BB10_12 Depth=1
                                        ; =>  This Loop Header: Depth=2
                                        ;       Child Loop BB10_66 Depth 3
                                        ;       Child Loop BB10_75 Depth 3
                                        ;         Child Loop BB10_78 Depth 4
                                        ;       Child Loop BB10_84 Depth 3
                                        ;         Child Loop BB10_87 Depth 4
                                        ;           Child Loop BB10_88 Depth 5
	s_ashr_i32 s7, s6, 31
	v_mov_b32_e32 v10, s31
	s_lshl_b64 s[44:45], s[6:7], 2
	s_delay_alu instid0(SALU_CYCLE_1)
	s_add_u32 s44, s10, s44
	s_addc_u32 s45, s11, s45
	global_load_b32 v9, v24, s[44:45]
	s_and_saveexec_b32 s7, s4
	s_cbranch_execz .LBB10_63
; %bb.62:                               ;   in Loop: Header=BB10_61 Depth=2
	global_load_b32 v10, v[7:8], off
	s_waitcnt vmcnt(0)
	v_subrev_nc_u32_e32 v10, s24, v10
.LBB10_63:                              ;   in Loop: Header=BB10_61 Depth=2
	s_or_b32 exec_lo, exec_lo, s7
	s_waitcnt vmcnt(0)
	v_subrev_nc_u32_e32 v11, s24, v9
	v_mov_b32_e32 v12, v6
	s_mov_b32 s7, exec_lo
	s_delay_alu instid0(VALU_DEP_2)
	v_cmpx_lt_i32_e64 v10, v11
	s_cbranch_execz .LBB10_69
; %bb.64:                               ;   in Loop: Header=BB10_61 Depth=2
	v_mov_b32_e32 v9, v6
	s_mov_b32 s35, 0
	s_branch .LBB10_66
	.p2align	6
.LBB10_65:                              ;   in Loop: Header=BB10_66 Depth=3
	s_or_b32 exec_lo, exec_lo, s43
	s_delay_alu instid0(VALU_DEP_1) | instskip(SKIP_2) | instid1(SALU_CYCLE_1)
	v_cmp_ge_i32_e32 vcc_lo, v10, v11
	v_mov_b32_e32 v9, v12
	s_or_b32 s35, vcc_lo, s35
	s_and_not1_b32 exec_lo, exec_lo, s35
	s_cbranch_execz .LBB10_68
.LBB10_66:                              ;   Parent Loop BB10_12 Depth=1
                                        ;     Parent Loop BB10_61 Depth=2
                                        ; =>    This Inner Loop Header: Depth=3
	s_delay_alu instid0(VALU_DEP_1) | instskip(SKIP_2) | instid1(VALU_DEP_2)
	v_add_nc_u32_e32 v12, 64, v9
	v_mov_b32_e32 v10, s31
	s_mov_b32 s43, exec_lo
	v_cmpx_gt_i32_e64 s33, v12
	s_cbranch_execz .LBB10_65
; %bb.67:                               ;   in Loop: Header=BB10_66 Depth=3
	v_ashrrev_i32_e32 v10, 31, v9
	s_delay_alu instid0(VALU_DEP_1) | instskip(NEXT) | instid1(VALU_DEP_1)
	v_lshlrev_b64 v[9:10], 2, v[9:10]
	v_add_co_u32 v9, vcc_lo, s38, v9
	s_delay_alu instid0(VALU_DEP_2)
	v_add_co_ci_u32_e32 v10, vcc_lo, s39, v10, vcc_lo
	global_load_b32 v9, v[9:10], off
	s_waitcnt vmcnt(0)
	v_subrev_nc_u32_e32 v10, s24, v9
	s_branch .LBB10_65
.LBB10_68:                              ;   in Loop: Header=BB10_61 Depth=2
	s_or_b32 exec_lo, exec_lo, s35
.LBB10_69:                              ;   in Loop: Header=BB10_61 Depth=2
	s_delay_alu instid0(SALU_CYCLE_1)
	s_or_b32 exec_lo, exec_lo, s7
	v_cmp_eq_u32_e32 vcc_lo, v10, v11
	s_cbranch_vccz .LBB10_60
; %bb.70:                               ;   in Loop: Header=BB10_61 Depth=2
	s_ctz_i32_b32 s7, vcc_lo
	s_delay_alu instid0(SALU_CYCLE_1) | instskip(NEXT) | instid1(SALU_CYCLE_1)
	s_lshl_b32 s7, s7, 2
	v_mov_b32_e32 v9, s7
	ds_bpermute_b32 v12, v9, v12
	s_and_saveexec_b32 s7, s1
	s_delay_alu instid0(SALU_CYCLE_1)
	s_xor_b32 s7, exec_lo, s7
	s_cbranch_execz .LBB10_72
; %bb.71:                               ;   in Loop: Header=BB10_61 Depth=2
	s_waitcnt lgkmcnt(0)
	s_waitcnt_vscnt null, 0x0
	buffer_gl0_inv
                                        ; implicit-def: $vgpr12
.LBB10_72:                              ;   in Loop: Header=BB10_61 Depth=2
	s_and_not1_saveexec_b32 s7, s7
	s_cbranch_execz .LBB10_59
; %bb.73:                               ;   in Loop: Header=BB10_61 Depth=2
	v_mov_b32_e32 v13, v17
	v_mov_b32_e32 v26, v25
	;; [unrolled: 1-line block ×3, first 2 shown]
	s_mul_i32 s43, s6, s25
	s_mov_b32 s35, 0
	s_set_inst_prefetch_distance 0x1
	s_branch .LBB10_75
	.p2align	6
.LBB10_74:                              ;   in Loop: Header=BB10_75 Depth=3
	s_or_b32 exec_lo, exec_lo, s44
	v_add_nc_u32_e32 v9, 16, v9
	v_add_nc_u32_e32 v26, s41, v26
	;; [unrolled: 1-line block ×3, first 2 shown]
	s_delay_alu instid0(VALU_DEP_3) | instskip(SKIP_1) | instid1(SALU_CYCLE_1)
	v_cmp_le_i32_e32 vcc_lo, s25, v9
	s_or_b32 s35, vcc_lo, s35
	s_and_not1_b32 exec_lo, exec_lo, s35
	s_cbranch_execz .LBB10_82
.LBB10_75:                              ;   Parent Loop BB10_12 Depth=1
                                        ;     Parent Loop BB10_61 Depth=2
                                        ; =>    This Loop Header: Depth=3
                                        ;         Child Loop BB10_78 Depth 4
	s_and_saveexec_b32 s44, s2
	s_cbranch_execz .LBB10_74
; %bb.76:                               ;   in Loop: Header=BB10_75 Depth=3
	v_dual_mov_b32 v27, v13 :: v_dual_mov_b32 v28, v15
	s_mov_b32 s45, 0
	s_branch .LBB10_78
	.p2align	6
.LBB10_77:                              ;   in Loop: Header=BB10_78 Depth=4
	s_delay_alu instid0(VALU_DEP_1) | instskip(SKIP_1) | instid1(VALU_DEP_2)
	v_ashrrev_i32_e32 v11, 31, v10
	v_add_nc_u32_e32 v28, 4, v28
	v_lshlrev_b64 v[10:11], 3, v[10:11]
	s_delay_alu instid0(VALU_DEP_1) | instskip(NEXT) | instid1(VALU_DEP_2)
	v_add_co_u32 v10, vcc_lo, s12, v10
	v_add_co_ci_u32_e32 v11, vcc_lo, s13, v11, vcc_lo
	s_delay_alu instid0(VALU_DEP_4)
	v_cmp_le_i32_e32 vcc_lo, s25, v28
	global_load_b64 v[10:11], v[10:11], off
	s_or_b32 s45, vcc_lo, s45
	s_waitcnt vmcnt(0)
	ds_store_b64 v27, v[10:11]
	v_add_nc_u32_e32 v27, 0x220, v27
	s_and_not1_b32 exec_lo, exec_lo, s45
	s_cbranch_execz .LBB10_74
.LBB10_78:                              ;   Parent Loop BB10_12 Depth=1
                                        ;     Parent Loop BB10_61 Depth=2
                                        ;       Parent Loop BB10_75 Depth=3
                                        ; =>      This Inner Loop Header: Depth=4
	s_and_b32 vcc_lo, exec_lo, s29
	s_cbranch_vccz .LBB10_80
; %bb.79:                               ;   in Loop: Header=BB10_78 Depth=4
	v_add_nc_u32_e32 v29, s43, v28
	s_delay_alu instid0(VALU_DEP_1)
	v_mad_u64_u32 v[10:11], null, v29, s25, v[9:10]
	s_cbranch_execnz .LBB10_77
	s_branch .LBB10_81
	.p2align	6
.LBB10_80:                              ;   in Loop: Header=BB10_78 Depth=4
                                        ; implicit-def: $vgpr10
.LBB10_81:                              ;   in Loop: Header=BB10_78 Depth=4
	v_add_nc_u32_e32 v10, v26, v28
	s_branch .LBB10_77
.LBB10_82:                              ;   in Loop: Header=BB10_61 Depth=2
	s_set_inst_prefetch_distance 0x2
	s_or_b32 exec_lo, exec_lo, s35
	s_waitcnt lgkmcnt(0)
	v_mul_lo_u32 v26, v12, s25
	v_mov_b32_e32 v27, v23
	v_mov_b32_e32 v9, v5
	s_mov_b32 s35, 0
	s_waitcnt_vscnt null, 0x0
	buffer_gl0_inv
	s_branch .LBB10_84
.LBB10_83:                              ;   in Loop: Header=BB10_84 Depth=3
	s_or_b32 exec_lo, exec_lo, s43
	v_add_nc_u32_e32 v9, 16, v9
	v_add_nc_u32_e32 v27, 0x80, v27
	s_delay_alu instid0(VALU_DEP_2) | instskip(SKIP_1) | instid1(SALU_CYCLE_1)
	v_cmp_le_i32_e32 vcc_lo, s25, v9
	s_or_b32 s35, vcc_lo, s35
	s_and_not1_b32 exec_lo, exec_lo, s35
	s_cbranch_execz .LBB10_58
.LBB10_84:                              ;   Parent Loop BB10_12 Depth=1
                                        ;     Parent Loop BB10_61 Depth=2
                                        ; =>    This Loop Header: Depth=3
                                        ;         Child Loop BB10_87 Depth 4
                                        ;           Child Loop BB10_88 Depth 5
	s_and_saveexec_b32 s43, s2
	s_cbranch_execz .LBB10_83
; %bb.85:                               ;   in Loop: Header=BB10_84 Depth=3
	v_dual_mov_b32 v29, v19 :: v_dual_add_nc_u32 v10, v9, v26
	v_mov_b32_e32 v30, v15
	s_mov_b32 s44, 0
	s_delay_alu instid0(VALU_DEP_2)
	v_mul_lo_u32 v28, v10, s25
	s_branch .LBB10_87
.LBB10_86:                              ;   in Loop: Header=BB10_87 Depth=4
	s_delay_alu instid0(VALU_DEP_1) | instskip(SKIP_2) | instid1(VALU_DEP_3)
	v_ashrrev_i32_e32 v13, 31, v12
	v_add_nc_u32_e32 v30, 4, v30
	v_add_nc_u32_e32 v29, 0x220, v29
	v_lshlrev_b64 v[12:13], 3, v[12:13]
	s_delay_alu instid0(VALU_DEP_1) | instskip(NEXT) | instid1(VALU_DEP_2)
	v_add_co_u32 v12, vcc_lo, s12, v12
	v_add_co_ci_u32_e32 v13, vcc_lo, s13, v13, vcc_lo
	v_cmp_le_i32_e32 vcc_lo, s25, v30
	global_load_b64 v[31:32], v[12:13], off
	s_or_b32 s44, vcc_lo, s44
	s_waitcnt vmcnt(0)
	v_add_f64 v[10:11], v[31:32], -v[10:11]
	global_store_b64 v[12:13], v[10:11], off
	s_and_not1_b32 exec_lo, exec_lo, s44
	s_cbranch_execz .LBB10_83
.LBB10_87:                              ;   Parent Loop BB10_12 Depth=1
                                        ;     Parent Loop BB10_61 Depth=2
                                        ;       Parent Loop BB10_84 Depth=3
                                        ; =>      This Loop Header: Depth=4
                                        ;           Child Loop BB10_88 Depth 5
	v_dual_mov_b32 v10, 0 :: v_dual_mov_b32 v13, v29
	v_dual_mov_b32 v11, 0 :: v_dual_mov_b32 v12, v27
	s_mov_b32 s45, s25
.LBB10_88:                              ;   Parent Loop BB10_12 Depth=1
                                        ;     Parent Loop BB10_61 Depth=2
                                        ;       Parent Loop BB10_84 Depth=3
                                        ;         Parent Loop BB10_87 Depth=4
                                        ; =>        This Inner Loop Header: Depth=5
	ds_load_b64 v[31:32], v12
	ds_load_b64 v[33:34], v13
	v_add_nc_u32_e32 v13, 8, v13
	v_add_nc_u32_e32 v12, 0x88, v12
	s_add_i32 s45, s45, -1
	s_delay_alu instid0(SALU_CYCLE_1)
	s_cmp_eq_u32 s45, 0
	s_waitcnt lgkmcnt(0)
	v_fma_f64 v[10:11], v[31:32], v[33:34], v[10:11]
	s_cbranch_scc0 .LBB10_88
; %bb.89:                               ;   in Loop: Header=BB10_87 Depth=4
	s_and_b32 vcc_lo, exec_lo, s29
	s_cbranch_vccz .LBB10_91
; %bb.90:                               ;   in Loop: Header=BB10_87 Depth=4
	v_add_nc_u32_e32 v31, v30, v26
	s_delay_alu instid0(VALU_DEP_1)
	v_mad_u64_u32 v[12:13], null, v31, s25, v[9:10]
	s_cbranch_execnz .LBB10_86
	s_branch .LBB10_92
.LBB10_91:                              ;   in Loop: Header=BB10_87 Depth=4
                                        ; implicit-def: $vgpr12
.LBB10_92:                              ;   in Loop: Header=BB10_87 Depth=4
	v_add_nc_u32_e32 v12, v30, v28
	s_branch .LBB10_86
.LBB10_93:
	s_ashr_i32 s29, s28, 31
	v_mov_b32_e32 v5, 0
	s_lshl_b64 s[0:1], s[28:29], 2
	s_delay_alu instid0(SALU_CYCLE_1) | instskip(SKIP_4) | instid1(VALU_DEP_1)
	s_add_u32 s0, s10, s0
	s_addc_u32 s1, s11, s1
	global_load_b32 v5, v5, s[0:1]
	s_waitcnt vmcnt(0)
	v_subrev_nc_u32_e32 v5, s24, v5
	v_cmp_ne_u32_e32 vcc_lo, s22, v5
	s_cbranch_vccnz .LBB10_138
; %bb.94:
	v_and_b32_e32 v5, 0x3ff, v0
	s_delay_alu instid0(VALU_DEP_1) | instskip(NEXT) | instid1(VALU_DEP_1)
	v_cmp_gt_i32_e64 s0, s25, v5
	s_and_saveexec_b32 s2, s0
	s_cbranch_execz .LBB10_105
; %bb.95:
	s_mul_i32 s3, s28, s25
	v_bfe_u32 v9, v0, 10, 10
	v_add_nc_u32_e32 v6, s3, v5
	v_lshlrev_b32_e32 v7, 3, v5
	s_cmp_lg_u32 s30, 0
	s_mov_b32 s4, 0
	v_cmp_gt_u32_e64 s1, s25, v9
	v_mul_lo_u32 v10, s25, v6
	v_mov_b32_e32 v6, v5
	v_mad_u32_u24 v11, 0x88, v9, v7
	s_cselect_b32 s5, -1, 0
	s_lshl_b32 s6, s25, 4
	s_set_inst_prefetch_distance 0x1
	s_branch .LBB10_97
	.p2align	6
.LBB10_96:                              ;   in Loop: Header=BB10_97 Depth=1
	s_or_b32 exec_lo, exec_lo, s7
	v_add_nc_u32_e32 v6, 16, v6
	v_add_nc_u32_e32 v10, s6, v10
	;; [unrolled: 1-line block ×3, first 2 shown]
	s_delay_alu instid0(VALU_DEP_3) | instskip(SKIP_1) | instid1(SALU_CYCLE_1)
	v_cmp_le_i32_e32 vcc_lo, s25, v6
	s_or_b32 s4, vcc_lo, s4
	s_and_not1_b32 exec_lo, exec_lo, s4
	s_cbranch_execz .LBB10_105
.LBB10_97:                              ; =>This Loop Header: Depth=1
                                        ;     Child Loop BB10_100 Depth 2
	s_and_saveexec_b32 s7, s1
	s_cbranch_execz .LBB10_96
; %bb.98:                               ;   in Loop: Header=BB10_97 Depth=1
	v_dual_mov_b32 v12, v11 :: v_dual_mov_b32 v13, v9
	s_mov_b32 s8, 0
	s_branch .LBB10_100
	.p2align	6
.LBB10_99:                              ;   in Loop: Header=BB10_100 Depth=2
	s_delay_alu instid0(VALU_DEP_1) | instskip(SKIP_1) | instid1(VALU_DEP_2)
	v_ashrrev_i32_e32 v8, 31, v7
	v_add_nc_u32_e32 v13, 4, v13
	v_lshlrev_b64 v[7:8], 3, v[7:8]
	s_delay_alu instid0(VALU_DEP_1) | instskip(NEXT) | instid1(VALU_DEP_2)
	v_add_co_u32 v7, vcc_lo, s12, v7
	v_add_co_ci_u32_e32 v8, vcc_lo, s13, v8, vcc_lo
	s_delay_alu instid0(VALU_DEP_4)
	v_cmp_le_i32_e32 vcc_lo, s25, v13
	global_load_b64 v[7:8], v[7:8], off
	s_or_b32 s8, vcc_lo, s8
	s_waitcnt vmcnt(0)
	ds_store_b64 v12, v[7:8]
	v_add_nc_u32_e32 v12, 0x220, v12
	s_and_not1_b32 exec_lo, exec_lo, s8
	s_cbranch_execz .LBB10_96
.LBB10_100:                             ;   Parent Loop BB10_97 Depth=1
                                        ; =>  This Inner Loop Header: Depth=2
	s_and_b32 vcc_lo, exec_lo, s5
	s_cbranch_vccz .LBB10_102
; %bb.101:                              ;   in Loop: Header=BB10_100 Depth=2
	v_add_nc_u32_e32 v15, s3, v13
	s_delay_alu instid0(VALU_DEP_1)
	v_mad_u64_u32 v[7:8], null, v15, s25, v[6:7]
	s_cbranch_execnz .LBB10_99
	s_branch .LBB10_103
	.p2align	6
.LBB10_102:                             ;   in Loop: Header=BB10_100 Depth=2
                                        ; implicit-def: $vgpr7
.LBB10_103:                             ;   in Loop: Header=BB10_100 Depth=2
	v_add_nc_u32_e32 v7, v10, v13
	s_branch .LBB10_99
.LBB10_104:
	s_mov_b32 s23, -1
	s_branch .LBB10_171
.LBB10_105:
	s_set_inst_prefetch_distance 0x2
	s_or_b32 exec_lo, exec_lo, s2
	s_cmp_lt_i32 s25, 1
	s_waitcnt lgkmcnt(0)
	s_waitcnt_vscnt null, 0x0
	buffer_gl0_inv
	s_cbranch_scc1 .LBB10_127
; %bb.106:
	v_cvt_f64_f32_e32 v[7:8], v14
	v_bfe_u32 v12, v0, 10, 10
	s_cmp_eq_u64 s[16:17], 8
	v_lshl_add_u32 v13, v5, 3, 0x90
	s_cselect_b32 vcc_lo, -1, 0
	s_mov_b32 s4, 0
	v_or_b32_e32 v9, v5, v12
	v_cmp_eq_u32_e64 s1, 0, v12
	v_mul_u32_u24_e32 v6, 0x88, v12
	s_delay_alu instid0(VALU_DEP_3)
	v_cmp_eq_u32_e64 s2, 0, v9
	v_dual_cndmask_b32 v4, v8, v4 :: v_dual_cndmask_b32 v3, v7, v3
.LBB10_107:                             ; =>This Loop Header: Depth=1
                                        ;     Child Loop BB10_119 Depth 2
                                        ;       Child Loop BB10_123 Depth 3
	s_lshl_b32 s3, s4, 3
	s_mul_i32 s5, s4, 0x88
	s_and_not1_b32 vcc_lo, exec_lo, s36
	s_add_i32 s3, s5, s3
	s_delay_alu instid0(SALU_CYCLE_1)
	v_mov_b32_e32 v7, s3
	s_waitcnt lgkmcnt(0)
	ds_load_b64 v[9:10], v7
	s_cbranch_vccnz .LBB10_111
; %bb.108:                              ;   in Loop: Header=BB10_107 Depth=1
	s_waitcnt lgkmcnt(0)
	v_cmp_gt_f64_e32 vcc_lo, 0, v[9:10]
	v_xor_b32_e32 v7, 0x80000000, v10
	buffer_gl0_inv
	v_dual_cndmask_b32 v8, v10, v7 :: v_dual_cndmask_b32 v7, v9, v9
	s_delay_alu instid0(VALU_DEP_1)
	v_cmp_le_f64_e32 vcc_lo, v[7:8], v[3:4]
	v_dual_cndmask_b32 v8, v10, v2 :: v_dual_cndmask_b32 v7, v9, v1
	s_and_saveexec_b32 s6, s2
	s_cbranch_execz .LBB10_110
; %bb.109:                              ;   in Loop: Header=BB10_107 Depth=1
	v_mov_b32_e32 v11, s3
	ds_store_b64 v11, v[7:8]
.LBB10_110:                             ;   in Loop: Header=BB10_107 Depth=1
	s_or_b32 exec_lo, exec_lo, s6
	s_mov_b32 s3, -1
	s_mov_b32 s7, 0
	s_cbranch_execz .LBB10_112
	s_branch .LBB10_113
.LBB10_111:                             ;   in Loop: Header=BB10_107 Depth=1
	s_mov_b32 s3, 0
                                        ; implicit-def: $vgpr7_vgpr8
	s_mov_b32 s7, 0
.LBB10_112:                             ;   in Loop: Header=BB10_107 Depth=1
	s_waitcnt lgkmcnt(0)
	v_cmp_neq_f64_e64 s3, 0, v[9:10]
	v_dual_mov_b32 v7, v9 :: v_dual_mov_b32 v8, v10
	s_mov_b32 s7, -1
.LBB10_113:                             ;   in Loop: Header=BB10_107 Depth=1
	s_delay_alu instid0(VALU_DEP_2)
	s_and_not1_b32 vcc_lo, exec_lo, s3
                                        ; implicit-def: $sgpr6
	s_cbranch_vccz .LBB10_116
; %bb.114:                              ;   in Loop: Header=BB10_107 Depth=1
	s_and_not1_b32 vcc_lo, exec_lo, s7
	s_cbranch_vccz .LBB10_125
.LBB10_115:                             ;   in Loop: Header=BB10_107 Depth=1
	s_cmp_eq_u32 s6, s25
	s_cbranch_scc0 .LBB10_126
	s_branch .LBB10_127
.LBB10_116:                             ;   in Loop: Header=BB10_107 Depth=1
	s_add_i32 s6, s4, 1
	s_mov_b32 s7, exec_lo
	v_add_nc_u32_e32 v14, s6, v5
	s_delay_alu instid0(VALU_DEP_1)
	v_cmpx_gt_i32_e64 s25, v14
	s_cbranch_execz .LBB10_124
; %bb.117:                              ;   in Loop: Header=BB10_107 Depth=1
	v_dual_mov_b32 v16, v13 :: v_dual_add_nc_u32 v15, s6, v12
	s_waitcnt lgkmcnt(0)
	v_mad_u64_u32 v[9:10], null, 0x90, s4, v[6:7]
	s_mov_b32 s8, 0
	s_delay_alu instid0(VALU_DEP_2)
	v_cmp_gt_i32_e64 s3, s25, v15
	s_branch .LBB10_119
.LBB10_118:                             ;   in Loop: Header=BB10_119 Depth=2
	s_or_b32 exec_lo, exec_lo, s9
	v_add_nc_u32_e32 v14, 16, v14
	v_add_nc_u32_e32 v16, 0x80, v16
	s_delay_alu instid0(VALU_DEP_2) | instskip(SKIP_1) | instid1(SALU_CYCLE_1)
	v_cmp_le_i32_e32 vcc_lo, s25, v14
	s_or_b32 s8, vcc_lo, s8
	s_and_not1_b32 exec_lo, exec_lo, s8
	s_cbranch_execz .LBB10_124
.LBB10_119:                             ;   Parent Loop BB10_107 Depth=1
                                        ; =>  This Loop Header: Depth=2
                                        ;       Child Loop BB10_123 Depth 3
	v_lshl_add_u32 v17, v14, 3, s5
	ds_load_b64 v[10:11], v17
	s_waitcnt lgkmcnt(0)
	buffer_gl0_inv
	v_div_scale_f64 v[18:19], null, v[7:8], v[7:8], v[10:11]
	s_delay_alu instid0(VALU_DEP_1) | instskip(SKIP_2) | instid1(VALU_DEP_1)
	v_rcp_f64_e32 v[20:21], v[18:19]
	s_waitcnt_depctr 0xfff
	v_fma_f64 v[22:23], -v[18:19], v[20:21], 1.0
	v_fma_f64 v[20:21], v[20:21], v[22:23], v[20:21]
	s_delay_alu instid0(VALU_DEP_1) | instskip(NEXT) | instid1(VALU_DEP_1)
	v_fma_f64 v[22:23], -v[18:19], v[20:21], 1.0
	v_fma_f64 v[20:21], v[20:21], v[22:23], v[20:21]
	v_div_scale_f64 v[22:23], vcc_lo, v[10:11], v[7:8], v[10:11]
	s_delay_alu instid0(VALU_DEP_1) | instskip(NEXT) | instid1(VALU_DEP_1)
	v_mul_f64 v[24:25], v[22:23], v[20:21]
	v_fma_f64 v[18:19], -v[18:19], v[24:25], v[22:23]
	s_delay_alu instid0(VALU_DEP_1) | instskip(NEXT) | instid1(VALU_DEP_1)
	v_div_fmas_f64 v[18:19], v[18:19], v[20:21], v[24:25]
	v_div_fixup_f64 v[10:11], v[18:19], v[7:8], v[10:11]
	s_and_saveexec_b32 s9, s1
	s_cbranch_execz .LBB10_121
; %bb.120:                              ;   in Loop: Header=BB10_119 Depth=2
	ds_store_b64 v17, v[10:11]
.LBB10_121:                             ;   in Loop: Header=BB10_119 Depth=2
	s_or_b32 exec_lo, exec_lo, s9
	s_and_saveexec_b32 s9, s3
	s_cbranch_execz .LBB10_118
; %bb.122:                              ;   in Loop: Header=BB10_119 Depth=2
	v_dual_mov_b32 v17, v9 :: v_dual_mov_b32 v18, v15
	s_mov_b32 s10, 0
	.p2align	6
.LBB10_123:                             ;   Parent Loop BB10_107 Depth=1
                                        ;     Parent Loop BB10_119 Depth=2
                                        ; =>    This Inner Loop Header: Depth=3
	s_delay_alu instid0(VALU_DEP_1) | instskip(NEXT) | instid1(VALU_DEP_2)
	v_add_nc_u32_e32 v23, v17, v16
	v_add_nc_u32_e32 v18, 4, v18
	ds_load_b64 v[19:20], v17 offset:136
	ds_load_b64 v[21:22], v23
	v_add_nc_u32_e32 v17, 0x220, v17
	v_cmp_le_i32_e32 vcc_lo, s25, v18
	s_or_b32 s10, vcc_lo, s10
	s_waitcnt lgkmcnt(0)
	v_fma_f64 v[19:20], -v[10:11], v[19:20], v[21:22]
	ds_store_b64 v23, v[19:20]
	s_and_not1_b32 exec_lo, exec_lo, s10
	s_cbranch_execnz .LBB10_123
	s_branch .LBB10_118
.LBB10_124:                             ;   in Loop: Header=BB10_107 Depth=1
	s_or_b32 exec_lo, exec_lo, s7
	s_cbranch_execnz .LBB10_115
.LBB10_125:                             ;   in Loop: Header=BB10_107 Depth=1
	s_add_i32 s6, s4, 1
	s_mov_b32 s23, -1
	s_cmp_eq_u32 s6, s25
	s_cbranch_scc1 .LBB10_127
.LBB10_126:                             ;   in Loop: Header=BB10_107 Depth=1
	s_mov_b32 s4, s6
	s_branch .LBB10_107
.LBB10_127:
	s_waitcnt lgkmcnt(0)
	buffer_gl0_inv
	s_and_saveexec_b32 s2, s0
	s_cbranch_execz .LBB10_137
; %bb.128:
	s_mul_i32 s3, s28, s25
	v_bfe_u32 v6, v0, 10, 10
	v_add_nc_u32_e32 v1, s3, v5
	v_lshlrev_b32_e32 v2, 3, v5
	s_cmp_lg_u32 s30, 0
	s_mov_b32 s4, 0
	v_cmp_gt_u32_e64 s0, s25, v6
	v_mul_lo_u32 v7, s25, v1
	v_mad_u32_u24 v8, 0x88, v6, v2
	s_cselect_b32 s5, -1, 0
	s_lshl_b32 s6, s25, 4
	s_set_inst_prefetch_distance 0x1
	s_branch .LBB10_130
	.p2align	6
.LBB10_129:                             ;   in Loop: Header=BB10_130 Depth=1
	s_or_b32 exec_lo, exec_lo, s7
	v_add_nc_u32_e32 v5, 16, v5
	v_add_nc_u32_e32 v7, s6, v7
	;; [unrolled: 1-line block ×3, first 2 shown]
	s_delay_alu instid0(VALU_DEP_3) | instskip(SKIP_1) | instid1(SALU_CYCLE_1)
	v_cmp_le_i32_e32 vcc_lo, s25, v5
	s_or_b32 s4, vcc_lo, s4
	s_and_not1_b32 exec_lo, exec_lo, s4
	s_cbranch_execz .LBB10_137
.LBB10_130:                             ; =>This Loop Header: Depth=1
                                        ;     Child Loop BB10_133 Depth 2
	s_and_saveexec_b32 s7, s0
	s_cbranch_execz .LBB10_129
; %bb.131:                              ;   in Loop: Header=BB10_130 Depth=1
	v_dual_mov_b32 v9, v8 :: v_dual_mov_b32 v10, v6
	s_mov_b32 s8, 0
	s_branch .LBB10_133
	.p2align	6
.LBB10_132:                             ;   in Loop: Header=BB10_133 Depth=2
	s_delay_alu instid0(VALU_DEP_1) | instskip(SKIP_2) | instid1(VALU_DEP_3)
	v_ashrrev_i32_e32 v4, 31, v3
	v_add_nc_u32_e32 v10, 4, v10
	v_add_nc_u32_e32 v9, 0x220, v9
	v_lshlrev_b64 v[3:4], 3, v[3:4]
	s_delay_alu instid0(VALU_DEP_3) | instskip(SKIP_1) | instid1(VALU_DEP_2)
	v_cmp_le_i32_e32 vcc_lo, s25, v10
	s_or_b32 s8, vcc_lo, s8
	v_add_co_u32 v3, s1, s12, v3
	s_delay_alu instid0(VALU_DEP_1)
	v_add_co_ci_u32_e64 v4, s1, s13, v4, s1
	s_waitcnt lgkmcnt(0)
	global_store_b64 v[3:4], v[1:2], off
	s_and_not1_b32 exec_lo, exec_lo, s8
	s_cbranch_execz .LBB10_129
.LBB10_133:                             ;   Parent Loop BB10_130 Depth=1
                                        ; =>  This Inner Loop Header: Depth=2
	ds_load_b64 v[1:2], v9
	s_and_b32 vcc_lo, exec_lo, s5
	s_cbranch_vccz .LBB10_135
; %bb.134:                              ;   in Loop: Header=BB10_133 Depth=2
	v_add_nc_u32_e32 v11, s3, v10
	s_delay_alu instid0(VALU_DEP_1)
	v_mad_u64_u32 v[3:4], null, v11, s25, v[5:6]
	s_cbranch_execnz .LBB10_132
	s_branch .LBB10_136
	.p2align	6
.LBB10_135:                             ;   in Loop: Header=BB10_133 Depth=2
                                        ; implicit-def: $vgpr3
.LBB10_136:                             ;   in Loop: Header=BB10_133 Depth=2
	v_add_nc_u32_e32 v3, v7, v10
	s_branch .LBB10_132
.LBB10_137:
	s_set_inst_prefetch_distance 0x2
	s_or_b32 exec_lo, exec_lo, s2
.LBB10_138:
	s_add_i32 s3, s28, 1
	s_delay_alu instid0(SALU_CYCLE_1)
	s_cmp_ge_i32 s3, s33
	s_cbranch_scc1 .LBB10_171
; %bb.139:
	v_and_b32_e32 v1, 0x3ff, v0
	v_bfe_u32 v7, v0, 10, 10
	s_cmp_lg_u32 s30, 0
	s_mul_i32 s6, s25, s25
	s_cselect_b32 s4, -1, 0
	v_mad_u64_u32 v[2:3], null, s25, s3, v[1:2]
	v_mul_u32_u24_e32 v3, 0x88, v7
	v_lshlrev_b32_e32 v4, 3, v1
	v_mul_u32_u24_e32 v5, 0x88, v1
	v_lshlrev_b32_e32 v6, 3, v7
	s_cmp_gt_i32 s25, 0
	v_cmp_gt_i32_e64 s0, s25, v1
	v_cmp_gt_i32_e64 s1, s25, v7
	v_add_nc_u32_e32 v8, 1, v7
	v_mul_lo_u32 v9, s25, v2
	v_add3_u32 v10, v3, v4, 0x880
	v_add3_u32 v11, v6, v5, 0x888
	v_add_nc_u32_e32 v12, 8, v6
	s_cselect_b32 s5, -1, 0
	s_lshl_b32 s7, s25, 4
.LBB10_140:                             ; =>This Loop Header: Depth=1
                                        ;     Child Loop BB10_143 Depth 2
                                        ;       Child Loop BB10_146 Depth 3
                                        ;     Child Loop BB10_153 Depth 2
                                        ;       Child Loop BB10_156 Depth 3
                                        ;         Child Loop BB10_158 Depth 4
                                        ;     Child Loop BB10_162 Depth 2
                                        ;       Child Loop BB10_165 Depth 3
	s_mul_i32 s8, s3, s25
	s_waitcnt lgkmcnt(0)
	s_waitcnt_vscnt null, 0x0
	buffer_gl0_inv
	s_and_saveexec_b32 s2, s0
	s_cbranch_execz .LBB10_150
; %bb.141:                              ;   in Loop: Header=BB10_140 Depth=1
	v_dual_mov_b32 v5, v10 :: v_dual_mov_b32 v6, v9
	v_mov_b32_e32 v2, v1
	s_mov_b32 s9, 0
	s_set_inst_prefetch_distance 0x1
	s_branch .LBB10_143
	.p2align	6
.LBB10_142:                             ;   in Loop: Header=BB10_143 Depth=2
	s_or_b32 exec_lo, exec_lo, s10
	v_add_nc_u32_e32 v2, 16, v2
	v_add_nc_u32_e32 v6, s7, v6
	;; [unrolled: 1-line block ×3, first 2 shown]
	s_delay_alu instid0(VALU_DEP_3) | instskip(SKIP_1) | instid1(SALU_CYCLE_1)
	v_cmp_le_i32_e32 vcc_lo, s25, v2
	s_or_b32 s9, vcc_lo, s9
	s_and_not1_b32 exec_lo, exec_lo, s9
	s_cbranch_execz .LBB10_150
.LBB10_143:                             ;   Parent Loop BB10_140 Depth=1
                                        ; =>  This Loop Header: Depth=2
                                        ;       Child Loop BB10_146 Depth 3
	s_and_saveexec_b32 s10, s1
	s_cbranch_execz .LBB10_142
; %bb.144:                              ;   in Loop: Header=BB10_143 Depth=2
	v_dual_mov_b32 v13, v5 :: v_dual_mov_b32 v14, v7
	s_mov_b32 s11, 0
	s_branch .LBB10_146
	.p2align	6
.LBB10_145:                             ;   in Loop: Header=BB10_146 Depth=3
	s_delay_alu instid0(VALU_DEP_1) | instskip(SKIP_1) | instid1(VALU_DEP_2)
	v_ashrrev_i32_e32 v4, 31, v3
	v_add_nc_u32_e32 v14, 4, v14
	v_lshlrev_b64 v[3:4], 3, v[3:4]
	s_delay_alu instid0(VALU_DEP_1) | instskip(NEXT) | instid1(VALU_DEP_2)
	v_add_co_u32 v3, vcc_lo, s12, v3
	v_add_co_ci_u32_e32 v4, vcc_lo, s13, v4, vcc_lo
	s_delay_alu instid0(VALU_DEP_4)
	v_cmp_le_i32_e32 vcc_lo, s25, v14
	global_load_b64 v[3:4], v[3:4], off
	s_or_b32 s11, vcc_lo, s11
	s_waitcnt vmcnt(0)
	ds_store_b64 v13, v[3:4]
	v_add_nc_u32_e32 v13, 0x220, v13
	s_and_not1_b32 exec_lo, exec_lo, s11
	s_cbranch_execz .LBB10_142
.LBB10_146:                             ;   Parent Loop BB10_140 Depth=1
                                        ;     Parent Loop BB10_143 Depth=2
                                        ; =>    This Inner Loop Header: Depth=3
	s_and_b32 vcc_lo, exec_lo, s4
	s_cbranch_vccz .LBB10_148
; %bb.147:                              ;   in Loop: Header=BB10_146 Depth=3
	v_add_nc_u32_e32 v15, s8, v14
	s_delay_alu instid0(VALU_DEP_1)
	v_mad_u64_u32 v[3:4], null, v15, s25, v[2:3]
	s_cbranch_execnz .LBB10_145
	s_branch .LBB10_149
	.p2align	6
.LBB10_148:                             ;   in Loop: Header=BB10_146 Depth=3
                                        ; implicit-def: $vgpr3
.LBB10_149:                             ;   in Loop: Header=BB10_146 Depth=3
	v_add_nc_u32_e32 v3, v6, v14
	s_branch .LBB10_145
.LBB10_150:                             ;   in Loop: Header=BB10_140 Depth=1
	s_set_inst_prefetch_distance 0x2
	s_or_b32 exec_lo, exec_lo, s2
	s_delay_alu instid0(SALU_CYCLE_1)
	s_and_not1_b32 vcc_lo, exec_lo, s5
	s_waitcnt lgkmcnt(0)
	buffer_gl0_inv
	s_cbranch_vccnz .LBB10_159
; %bb.151:                              ;   in Loop: Header=BB10_140 Depth=1
	v_dual_mov_b32 v2, v12 :: v_dual_mov_b32 v3, v11
	s_mov_b32 s9, 0
	s_branch .LBB10_153
.LBB10_152:                             ;   in Loop: Header=BB10_153 Depth=2
	s_set_inst_prefetch_distance 0x2
	s_or_b32 exec_lo, exec_lo, s10
	v_add_nc_u32_e32 v3, 8, v3
	v_add_nc_u32_e32 v2, 0x90, v2
	s_add_i32 s9, s9, 1
	s_delay_alu instid0(SALU_CYCLE_1)
	s_cmp_eq_u32 s9, s25
	s_cbranch_scc1 .LBB10_159
.LBB10_153:                             ;   Parent Loop BB10_140 Depth=1
                                        ; =>  This Loop Header: Depth=2
                                        ;       Child Loop BB10_156 Depth 3
                                        ;         Child Loop BB10_158 Depth 4
	s_and_saveexec_b32 s10, s0
	s_cbranch_execz .LBB10_152
; %bb.154:                              ;   in Loop: Header=BB10_153 Depth=2
	v_dual_mov_b32 v5, v3 :: v_dual_add_nc_u32 v4, s9, v8
	v_mov_b32_e32 v6, v1
	s_mov_b32 s11, 0
	s_lshl_b32 s14, s9, 3
	s_delay_alu instid0(VALU_DEP_2)
	v_cmp_gt_i32_e32 vcc_lo, s25, v4
	s_set_inst_prefetch_distance 0x1
	s_branch .LBB10_156
	.p2align	6
.LBB10_155:                             ;   in Loop: Header=BB10_156 Depth=3
	s_or_b32 exec_lo, exec_lo, s15
	v_add_nc_u32_e32 v6, 16, v6
	v_add_nc_u32_e32 v5, 0x880, v5
	s_delay_alu instid0(VALU_DEP_2) | instskip(NEXT) | instid1(VALU_DEP_1)
	v_cmp_le_i32_e64 s2, s25, v6
	s_or_b32 s11, s2, s11
	s_delay_alu instid0(SALU_CYCLE_1)
	s_and_not1_b32 exec_lo, exec_lo, s11
	s_cbranch_execz .LBB10_152
.LBB10_156:                             ;   Parent Loop BB10_140 Depth=1
                                        ;     Parent Loop BB10_153 Depth=2
                                        ; =>    This Loop Header: Depth=3
                                        ;         Child Loop BB10_158 Depth 4
	s_and_saveexec_b32 s15, vcc_lo
	s_cbranch_execz .LBB10_155
; %bb.157:                              ;   in Loop: Header=BB10_156 Depth=3
	v_mul_lo_u32 v15, 0x88, v6
	v_dual_mov_b32 v13, v2 :: v_dual_mov_b32 v14, v5
	v_mov_b32_e32 v16, v4
	s_mov_b32 s16, 0
	s_delay_alu instid0(VALU_DEP_3)
	v_add3_u32 v15, 0x880, s14, v15
	.p2align	6
.LBB10_158:                             ;   Parent Loop BB10_140 Depth=1
                                        ;     Parent Loop BB10_153 Depth=2
                                        ;       Parent Loop BB10_156 Depth=3
                                        ; =>      This Inner Loop Header: Depth=4
	ds_load_b64 v[17:18], v13
	ds_load_b64 v[19:20], v15
	;; [unrolled: 1-line block ×3, first 2 shown]
	v_add_nc_u32_e32 v16, 4, v16
	v_add_nc_u32_e32 v13, 32, v13
	s_delay_alu instid0(VALU_DEP_2) | instskip(NEXT) | instid1(VALU_DEP_1)
	v_cmp_le_i32_e64 s2, s25, v16
	s_or_b32 s16, s2, s16
	s_waitcnt lgkmcnt(0)
	v_fma_f64 v[17:18], -v[17:18], v[19:20], v[21:22]
	ds_store_b64 v14, v[17:18]
	v_add_nc_u32_e32 v14, 32, v14
	s_and_not1_b32 exec_lo, exec_lo, s16
	s_cbranch_execnz .LBB10_158
	s_branch .LBB10_155
.LBB10_159:                             ;   in Loop: Header=BB10_140 Depth=1
	s_waitcnt lgkmcnt(0)
	buffer_gl0_inv
	s_and_saveexec_b32 s9, s0
	s_cbranch_execz .LBB10_169
; %bb.160:                              ;   in Loop: Header=BB10_140 Depth=1
	v_dual_mov_b32 v13, v10 :: v_dual_mov_b32 v14, v9
	v_mov_b32_e32 v2, v1
	s_mov_b32 s10, 0
	s_set_inst_prefetch_distance 0x1
	s_branch .LBB10_162
	.p2align	6
.LBB10_161:                             ;   in Loop: Header=BB10_162 Depth=2
	s_or_b32 exec_lo, exec_lo, s11
	v_add_nc_u32_e32 v2, 16, v2
	v_add_nc_u32_e32 v14, s7, v14
	;; [unrolled: 1-line block ×3, first 2 shown]
	s_delay_alu instid0(VALU_DEP_3) | instskip(SKIP_1) | instid1(SALU_CYCLE_1)
	v_cmp_le_i32_e32 vcc_lo, s25, v2
	s_or_b32 s10, vcc_lo, s10
	s_and_not1_b32 exec_lo, exec_lo, s10
	s_cbranch_execz .LBB10_169
.LBB10_162:                             ;   Parent Loop BB10_140 Depth=1
                                        ; =>  This Loop Header: Depth=2
                                        ;       Child Loop BB10_165 Depth 3
	s_and_saveexec_b32 s11, s1
	s_cbranch_execz .LBB10_161
; %bb.163:                              ;   in Loop: Header=BB10_162 Depth=2
	v_dual_mov_b32 v15, v13 :: v_dual_mov_b32 v16, v7
	s_mov_b32 s14, 0
	s_branch .LBB10_165
	.p2align	6
.LBB10_164:                             ;   in Loop: Header=BB10_165 Depth=3
	s_delay_alu instid0(VALU_DEP_1) | instskip(SKIP_2) | instid1(VALU_DEP_3)
	v_ashrrev_i32_e32 v6, 31, v5
	v_add_nc_u32_e32 v16, 4, v16
	v_add_nc_u32_e32 v15, 0x220, v15
	v_lshlrev_b64 v[5:6], 3, v[5:6]
	s_delay_alu instid0(VALU_DEP_3) | instskip(SKIP_1) | instid1(VALU_DEP_2)
	v_cmp_le_i32_e32 vcc_lo, s25, v16
	s_or_b32 s14, vcc_lo, s14
	v_add_co_u32 v5, s2, s12, v5
	s_delay_alu instid0(VALU_DEP_1)
	v_add_co_ci_u32_e64 v6, s2, s13, v6, s2
	s_waitcnt lgkmcnt(0)
	global_store_b64 v[5:6], v[3:4], off
	s_and_not1_b32 exec_lo, exec_lo, s14
	s_cbranch_execz .LBB10_161
.LBB10_165:                             ;   Parent Loop BB10_140 Depth=1
                                        ;     Parent Loop BB10_162 Depth=2
                                        ; =>    This Inner Loop Header: Depth=3
	ds_load_b64 v[3:4], v15
	s_and_b32 vcc_lo, exec_lo, s4
	s_cbranch_vccz .LBB10_167
; %bb.166:                              ;   in Loop: Header=BB10_165 Depth=3
	v_add_nc_u32_e32 v17, s8, v16
	s_waitcnt lgkmcnt(0)
	s_delay_alu instid0(VALU_DEP_1)
	v_mad_u64_u32 v[5:6], null, v17, s25, v[2:3]
	s_cbranch_execnz .LBB10_164
	s_branch .LBB10_168
	.p2align	6
.LBB10_167:                             ;   in Loop: Header=BB10_165 Depth=3
                                        ; implicit-def: $vgpr5
.LBB10_168:                             ;   in Loop: Header=BB10_165 Depth=3
	v_add_nc_u32_e32 v5, v14, v16
	s_branch .LBB10_164
.LBB10_169:                             ;   in Loop: Header=BB10_140 Depth=1
	s_set_inst_prefetch_distance 0x2
	s_or_b32 exec_lo, exec_lo, s9
; %bb.170:                              ;   in Loop: Header=BB10_140 Depth=1
	v_add_nc_u32_e32 v9, s6, v9
	s_add_i32 s3, s3, 1
	s_delay_alu instid0(SALU_CYCLE_1)
	s_cmp_ge_i32 s3, s33
	s_cbranch_scc0 .LBB10_140
.LBB10_171:
	s_waitcnt vmcnt(0)
	v_and_b32_e32 v1, 0x3ff, v0
	v_bfe_u32 v0, v0, 10, 10
	s_mov_b32 s0, exec_lo
	s_delay_alu instid0(VALU_DEP_1) | instskip(NEXT) | instid1(VALU_DEP_1)
	v_or_b32_e32 v0, v1, v0
	v_cmpx_eq_u32_e32 0, v0
	s_cbranch_execz .LBB10_175
; %bb.172:
	v_dual_mov_b32 v0, 0 :: v_dual_mov_b32 v1, 1
	s_add_u32 s0, s20, s26
	s_addc_u32 s1, s21, s27
	s_and_not1_b32 vcc_lo, exec_lo, s23
	s_waitcnt_vscnt null, 0x0
	global_store_b32 v0, v1, s[0:1]
	s_cbranch_vccnz .LBB10_175
; %bb.173:
	v_mbcnt_lo_u32_b32 v0, exec_lo, 0
	s_delay_alu instid0(VALU_DEP_1)
	v_cmp_eq_u32_e32 vcc_lo, 0, v0
	s_and_b32 exec_lo, exec_lo, vcc_lo
	s_cbranch_execz .LBB10_175
; %bb.174:
	s_add_i32 s0, s22, s24
	s_delay_alu instid0(SALU_CYCLE_1)
	v_dual_mov_b32 v0, 0 :: v_dual_mov_b32 v1, s0
	global_atomic_min_i32 v0, v1, s[18:19]
.LBB10_175:
	s_nop 0
	s_sendmsg sendmsg(MSG_DEALLOC_VGPRS)
	s_endpgm
	.section	.rodata,"a",@progbits
	.p2align	6, 0x0
	.amdhsa_kernel _ZN9rocsparseL12bsrilu0_9_32ILj64ELj64ELj16EdEEv20rocsparse_direction_iPKiS3_PT2_S3_iPiS3_S6_21rocsparse_index_base_imNS_24const_host_device_scalarIfEENS8_IdEENS8_IS4_EEb
		.amdhsa_group_segment_fixed_size 4352
		.amdhsa_private_segment_fixed_size 0
		.amdhsa_kernarg_size 116
		.amdhsa_user_sgpr_count 15
		.amdhsa_user_sgpr_dispatch_ptr 0
		.amdhsa_user_sgpr_queue_ptr 0
		.amdhsa_user_sgpr_kernarg_segment_ptr 1
		.amdhsa_user_sgpr_dispatch_id 0
		.amdhsa_user_sgpr_private_segment_size 0
		.amdhsa_wavefront_size32 1
		.amdhsa_uses_dynamic_stack 0
		.amdhsa_enable_private_segment 0
		.amdhsa_system_sgpr_workgroup_id_x 1
		.amdhsa_system_sgpr_workgroup_id_y 0
		.amdhsa_system_sgpr_workgroup_id_z 0
		.amdhsa_system_sgpr_workgroup_info 0
		.amdhsa_system_vgpr_workitem_id 1
		.amdhsa_next_free_vgpr 38
		.amdhsa_next_free_sgpr 48
		.amdhsa_reserve_vcc 1
		.amdhsa_float_round_mode_32 0
		.amdhsa_float_round_mode_16_64 0
		.amdhsa_float_denorm_mode_32 3
		.amdhsa_float_denorm_mode_16_64 3
		.amdhsa_dx10_clamp 1
		.amdhsa_ieee_mode 1
		.amdhsa_fp16_overflow 0
		.amdhsa_workgroup_processor_mode 1
		.amdhsa_memory_ordered 1
		.amdhsa_forward_progress 0
		.amdhsa_shared_vgpr_count 0
		.amdhsa_exception_fp_ieee_invalid_op 0
		.amdhsa_exception_fp_denorm_src 0
		.amdhsa_exception_fp_ieee_div_zero 0
		.amdhsa_exception_fp_ieee_overflow 0
		.amdhsa_exception_fp_ieee_underflow 0
		.amdhsa_exception_fp_ieee_inexact 0
		.amdhsa_exception_int_div_zero 0
	.end_amdhsa_kernel
	.section	.text._ZN9rocsparseL12bsrilu0_9_32ILj64ELj64ELj16EdEEv20rocsparse_direction_iPKiS3_PT2_S3_iPiS3_S6_21rocsparse_index_base_imNS_24const_host_device_scalarIfEENS8_IdEENS8_IS4_EEb,"axG",@progbits,_ZN9rocsparseL12bsrilu0_9_32ILj64ELj64ELj16EdEEv20rocsparse_direction_iPKiS3_PT2_S3_iPiS3_S6_21rocsparse_index_base_imNS_24const_host_device_scalarIfEENS8_IdEENS8_IS4_EEb,comdat
.Lfunc_end10:
	.size	_ZN9rocsparseL12bsrilu0_9_32ILj64ELj64ELj16EdEEv20rocsparse_direction_iPKiS3_PT2_S3_iPiS3_S6_21rocsparse_index_base_imNS_24const_host_device_scalarIfEENS8_IdEENS8_IS4_EEb, .Lfunc_end10-_ZN9rocsparseL12bsrilu0_9_32ILj64ELj64ELj16EdEEv20rocsparse_direction_iPKiS3_PT2_S3_iPiS3_S6_21rocsparse_index_base_imNS_24const_host_device_scalarIfEENS8_IdEENS8_IS4_EEb
                                        ; -- End function
	.section	.AMDGPU.csdata,"",@progbits
; Kernel info:
; codeLenInByte = 5332
; NumSgprs: 50
; NumVgprs: 38
; ScratchSize: 0
; MemoryBound: 0
; FloatMode: 240
; IeeeMode: 1
; LDSByteSize: 4352 bytes/workgroup (compile time only)
; SGPRBlocks: 6
; VGPRBlocks: 4
; NumSGPRsForWavesPerEU: 50
; NumVGPRsForWavesPerEU: 38
; Occupancy: 15
; WaveLimiterHint : 1
; COMPUTE_PGM_RSRC2:SCRATCH_EN: 0
; COMPUTE_PGM_RSRC2:USER_SGPR: 15
; COMPUTE_PGM_RSRC2:TRAP_HANDLER: 0
; COMPUTE_PGM_RSRC2:TGID_X_EN: 1
; COMPUTE_PGM_RSRC2:TGID_Y_EN: 0
; COMPUTE_PGM_RSRC2:TGID_Z_EN: 0
; COMPUTE_PGM_RSRC2:TIDIG_COMP_CNT: 1
	.section	.text._ZN9rocsparseL12bsrilu0_9_32ILj64ELj64ELj32EdEEv20rocsparse_direction_iPKiS3_PT2_S3_iPiS3_S6_21rocsparse_index_base_imNS_24const_host_device_scalarIfEENS8_IdEENS8_IS4_EEb,"axG",@progbits,_ZN9rocsparseL12bsrilu0_9_32ILj64ELj64ELj32EdEEv20rocsparse_direction_iPKiS3_PT2_S3_iPiS3_S6_21rocsparse_index_base_imNS_24const_host_device_scalarIfEENS8_IdEENS8_IS4_EEb,comdat
	.globl	_ZN9rocsparseL12bsrilu0_9_32ILj64ELj64ELj32EdEEv20rocsparse_direction_iPKiS3_PT2_S3_iPiS3_S6_21rocsparse_index_base_imNS_24const_host_device_scalarIfEENS8_IdEENS8_IS4_EEb ; -- Begin function _ZN9rocsparseL12bsrilu0_9_32ILj64ELj64ELj32EdEEv20rocsparse_direction_iPKiS3_PT2_S3_iPiS3_S6_21rocsparse_index_base_imNS_24const_host_device_scalarIfEENS8_IdEENS8_IS4_EEb
	.p2align	8
	.type	_ZN9rocsparseL12bsrilu0_9_32ILj64ELj64ELj32EdEEv20rocsparse_direction_iPKiS3_PT2_S3_iPiS3_S6_21rocsparse_index_base_imNS_24const_host_device_scalarIfEENS8_IdEENS8_IS4_EEb,@function
_ZN9rocsparseL12bsrilu0_9_32ILj64ELj64ELj32EdEEv20rocsparse_direction_iPKiS3_PT2_S3_iPiS3_S6_21rocsparse_index_base_imNS_24const_host_device_scalarIfEENS8_IdEENS8_IS4_EEb: ; @_ZN9rocsparseL12bsrilu0_9_32ILj64ELj64ELj32EdEEv20rocsparse_direction_iPKiS3_PT2_S3_iPiS3_S6_21rocsparse_index_base_imNS_24const_host_device_scalarIfEENS8_IdEENS8_IS4_EEb
; %bb.0:
	s_clause 0x2
	s_load_b32 s3, s[0:1], 0x70
	s_load_b64 s[24:25], s[0:1], 0x48
	s_load_b256 s[16:23], s[0:1], 0x50
	s_mov_b32 s2, s15
	s_waitcnt lgkmcnt(0)
	s_bitcmp1_b32 s3, 0
	s_cselect_b32 s6, -1, 0
	s_cmp_lg_u32 s25, 0
	s_cselect_b32 s36, -1, 0
	s_cmp_eq_u32 s25, 0
	s_cselect_b32 s3, -1, 0
	s_delay_alu instid0(SALU_CYCLE_1) | instskip(SKIP_3) | instid1(SALU_CYCLE_1)
	s_and_b32 s4, s3, exec_lo
	s_cselect_b32 s4, 0, s20
	s_cselect_b32 s5, 0, s21
	s_or_b32 s6, s3, s6
	s_and_b32 vcc_lo, exec_lo, s6
	s_xor_b32 s6, s6, -1
	s_cbranch_vccnz .LBB11_2
; %bb.1:
	s_load_b32 s4, s[18:19], 0x0
	s_waitcnt lgkmcnt(0)
	v_mov_b32_e32 v14, s4
	s_mov_b64 s[4:5], s[20:21]
	s_branch .LBB11_3
.LBB11_2:
	v_cndmask_b32_e64 v14, s18, 0, s3
.LBB11_3:
	v_cndmask_b32_e64 v1, 0, 1, s6
	v_dual_mov_b32 v3, s4 :: v_dual_mov_b32 v4, s5
	s_and_not1_b32 vcc_lo, exec_lo, s6
	s_cbranch_vccnz .LBB11_5
; %bb.4:
	v_dual_mov_b32 v2, s20 :: v_dual_mov_b32 v3, s21
	flat_load_b64 v[3:4], v[2:3]
.LBB11_5:
	s_and_b32 s3, s3, exec_lo
	s_cselect_b32 s5, 0, s23
	v_cmp_ne_u32_e32 vcc_lo, 1, v1
	s_cselect_b32 s4, 0, s22
	s_mov_b32 s3, 0
	v_dual_mov_b32 v1, s4 :: v_dual_mov_b32 v2, s5
	s_cbranch_vccnz .LBB11_7
; %bb.6:
	v_dual_mov_b32 v1, s22 :: v_dual_mov_b32 v2, s23
	flat_load_b64 v[1:2], v[1:2]
.LBB11_7:
	s_clause 0x1
	s_load_b128 s[20:23], s[0:1], 0x30
	s_load_b64 s[18:19], s[0:1], 0x40
	s_lshl_b64 s[2:3], s[2:3], 2
	s_waitcnt lgkmcnt(0)
	s_add_u32 s2, s22, s2
	s_addc_u32 s3, s23, s3
	s_load_b32 s22, s[2:3], 0x0
	s_load_b256 s[8:15], s[0:1], 0x8
	s_waitcnt lgkmcnt(0)
	s_ashr_i32 s23, s22, 31
	s_delay_alu instid0(SALU_CYCLE_1) | instskip(NEXT) | instid1(SALU_CYCLE_1)
	s_lshl_b64 s[26:27], s[22:23], 2
	s_add_u32 s2, s14, s26
	s_addc_u32 s3, s15, s27
	s_load_b32 s28, s[2:3], 0x0
	s_waitcnt lgkmcnt(0)
	s_cmp_eq_u32 s28, -1
	s_cbranch_scc1 .LBB11_104
; %bb.8:
	s_add_u32 s2, s8, s26
	s_addc_u32 s3, s9, s27
	s_mov_b32 s23, 0
	s_load_b64 s[2:3], s[2:3], 0x0
	s_clause 0x1
	s_load_b64 s[30:31], s[0:1], 0x0
	s_load_b32 s25, s[0:1], 0x28
	s_waitcnt lgkmcnt(0)
	s_sub_i32 s34, s2, s24
	s_sub_i32 s33, s3, s24
	s_cmp_ge_i32 s34, s28
	s_cbranch_scc1 .LBB11_93
; %bb.9:
	v_bfe_u32 v15, v0, 10, 10
	v_dual_mov_b32 v24, 0 :: v_dual_and_b32 v5, 0x3ff, v0
	s_cmp_lg_u32 s30, 0
	s_mul_i32 s40, s25, s25
	s_delay_alu instid0(VALU_DEP_2) | instskip(NEXT) | instid1(VALU_DEP_2)
	v_lshlrev_b32_e32 v6, 5, v15
	v_lshlrev_b32_e32 v11, 3, v5
	s_cselect_b32 s29, -1, 0
	s_cmp_gt_i32 s25, 0
	v_cmp_gt_i32_e64 s0, s25, v5
	v_add3_u32 v6, v6, v5, s34
	v_mad_u32_u24 v17, 0x108, v15, v11
	s_cselect_b32 s37, -1, 0
	s_add_i32 s31, s31, 1
	v_cmp_le_i32_e64 s1, s25, v5
	v_ashrrev_i32_e32 v7, 31, v6
	v_mad_u64_u32 v[9:10], null, s25, s34, v[5:6]
	v_cmp_gt_i32_e64 s2, s25, v15
	v_cmp_eq_u32_e64 s3, 0, v15
	s_delay_alu instid0(VALU_DEP_4)
	v_lshlrev_b64 v[7:8], 2, v[6:7]
	v_add_nc_u32_e32 v16, 1, v15
	s_add_u32 s8, s8, 4
	v_cmp_gt_i32_e64 s4, s33, v6
	v_mul_lo_u32 v18, s25, v9
	v_mul_u32_u24_e32 v19, 0x108, v15
	v_add_co_u32 v7, vcc_lo, s10, v7
	v_add_co_ci_u32_e32 v8, vcc_lo, s11, v8, vcc_lo
	v_add_nc_u32_e32 v20, 0x2100, v17
	v_add_nc_u32_e32 v21, 0x2208, v17
	v_mad_u32_u24 v22, 0x108, v15, 0x108
	v_add_nc_u32_e32 v23, 0x2100, v11
	s_addc_u32 s9, s9, 0
	s_add_u32 s38, s10, 0x100
	s_addc_u32 s39, s11, 0
	s_lshl_b32 s41, s25, 5
	s_branch .LBB11_12
.LBB11_10:                              ;   in Loop: Header=BB11_12 Depth=1
	s_mov_b32 s23, -1
.LBB11_11:                              ;   in Loop: Header=BB11_12 Depth=1
	s_add_i32 s34, s34, 1
	v_add_nc_u32_e32 v18, s40, v18
	s_cmp_lt_i32 s34, s28
	s_cselect_b32 s6, -1, 0
	s_delay_alu instid0(SALU_CYCLE_1) | instskip(NEXT) | instid1(SALU_CYCLE_1)
	s_and_b32 s5, s5, s6
	s_and_b32 vcc_lo, exec_lo, s5
	s_cbranch_vccz .LBB11_93
.LBB11_12:                              ; =>This Loop Header: Depth=1
                                        ;     Child Loop BB11_15 Depth 2
                                        ;       Child Loop BB11_18 Depth 3
                                        ;     Child Loop BB11_24 Depth 2
                                        ;     Child Loop BB11_28 Depth 2
                                        ;       Child Loop BB11_31 Depth 3
                                        ;     Child Loop BB11_38 Depth 2
                                        ;       Child Loop BB11_41 Depth 3
                                        ;         Child Loop BB11_45 Depth 4
                                        ;     Child Loop BB11_49 Depth 2
                                        ;       Child Loop BB11_52 Depth 3
                                        ;     Child Loop BB11_61 Depth 2
                                        ;       Child Loop BB11_66 Depth 3
                                        ;       Child Loop BB11_75 Depth 3
                                        ;         Child Loop BB11_78 Depth 4
                                        ;       Child Loop BB11_84 Depth 3
                                        ;         Child Loop BB11_87 Depth 4
                                        ;           Child Loop BB11_88 Depth 5
	s_ashr_i32 s35, s34, 31
	s_delay_alu instid0(SALU_CYCLE_1) | instskip(NEXT) | instid1(SALU_CYCLE_1)
	s_lshl_b64 s[6:7], s[34:35], 2
	s_add_u32 s6, s10, s6
	s_addc_u32 s7, s11, s7
	global_load_b32 v9, v24, s[6:7]
	s_waitcnt vmcnt(0)
	v_readfirstlane_b32 s5, v9
	s_and_saveexec_b32 s6, s0
	s_cbranch_execz .LBB11_22
; %bb.13:                               ;   in Loop: Header=BB11_12 Depth=1
	v_dual_mov_b32 v12, v20 :: v_dual_mov_b32 v13, v18
	v_mov_b32_e32 v9, v5
	s_mul_i32 s7, s34, s25
	s_mov_b32 s35, 0
	s_set_inst_prefetch_distance 0x1
	s_branch .LBB11_15
	.p2align	6
.LBB11_14:                              ;   in Loop: Header=BB11_15 Depth=2
	s_or_b32 exec_lo, exec_lo, s42
	v_add_nc_u32_e32 v9, 32, v9
	v_add_nc_u32_e32 v13, s41, v13
	;; [unrolled: 1-line block ×3, first 2 shown]
	s_delay_alu instid0(VALU_DEP_3) | instskip(SKIP_1) | instid1(SALU_CYCLE_1)
	v_cmp_le_i32_e32 vcc_lo, s25, v9
	s_or_b32 s35, vcc_lo, s35
	s_and_not1_b32 exec_lo, exec_lo, s35
	s_cbranch_execz .LBB11_22
.LBB11_15:                              ;   Parent Loop BB11_12 Depth=1
                                        ; =>  This Loop Header: Depth=2
                                        ;       Child Loop BB11_18 Depth 3
	s_and_saveexec_b32 s42, s2
	s_cbranch_execz .LBB11_14
; %bb.16:                               ;   in Loop: Header=BB11_15 Depth=2
	v_dual_mov_b32 v25, v12 :: v_dual_mov_b32 v26, v15
	s_mov_b32 s43, 0
	s_branch .LBB11_18
	.p2align	6
.LBB11_17:                              ;   in Loop: Header=BB11_18 Depth=3
	s_delay_alu instid0(VALU_DEP_1) | instskip(SKIP_1) | instid1(VALU_DEP_2)
	v_ashrrev_i32_e32 v11, 31, v10
	v_add_nc_u32_e32 v26, 2, v26
	v_lshlrev_b64 v[10:11], 3, v[10:11]
	s_delay_alu instid0(VALU_DEP_1) | instskip(NEXT) | instid1(VALU_DEP_2)
	v_add_co_u32 v10, vcc_lo, s12, v10
	v_add_co_ci_u32_e32 v11, vcc_lo, s13, v11, vcc_lo
	s_delay_alu instid0(VALU_DEP_4)
	v_cmp_le_i32_e32 vcc_lo, s25, v26
	global_load_b64 v[10:11], v[10:11], off
	s_or_b32 s43, vcc_lo, s43
	s_waitcnt vmcnt(0)
	ds_store_b64 v25, v[10:11]
	v_add_nc_u32_e32 v25, 0x210, v25
	s_and_not1_b32 exec_lo, exec_lo, s43
	s_cbranch_execz .LBB11_14
.LBB11_18:                              ;   Parent Loop BB11_12 Depth=1
                                        ;     Parent Loop BB11_15 Depth=2
                                        ; =>    This Inner Loop Header: Depth=3
	s_and_b32 vcc_lo, exec_lo, s29
	s_cbranch_vccz .LBB11_20
; %bb.19:                               ;   in Loop: Header=BB11_18 Depth=3
	v_add_nc_u32_e32 v27, s7, v26
	s_delay_alu instid0(VALU_DEP_1)
	v_mad_u64_u32 v[10:11], null, v27, s25, v[9:10]
	s_cbranch_execnz .LBB11_17
	s_branch .LBB11_21
	.p2align	6
.LBB11_20:                              ;   in Loop: Header=BB11_18 Depth=3
                                        ; implicit-def: $vgpr10
.LBB11_21:                              ;   in Loop: Header=BB11_18 Depth=3
	v_add_nc_u32_e32 v10, v13, v26
	s_branch .LBB11_17
.LBB11_22:                              ;   in Loop: Header=BB11_12 Depth=1
	s_set_inst_prefetch_distance 0x2
	s_or_b32 exec_lo, exec_lo, s6
	s_sub_i32 s6, s5, s24
	s_delay_alu instid0(SALU_CYCLE_1) | instskip(NEXT) | instid1(SALU_CYCLE_1)
	s_ashr_i32 s7, s6, 31
	s_lshl_b64 s[6:7], s[6:7], 2
	s_delay_alu instid0(SALU_CYCLE_1)
	s_add_u32 s42, s14, s6
	s_addc_u32 s43, s15, s7
	global_load_b32 v9, v24, s[42:43]
	s_waitcnt vmcnt(0)
	v_cmp_eq_u32_e32 vcc_lo, -1, v9
	v_readfirstlane_b32 s35, v9
	v_cmp_ne_u32_e64 s5, -1, v9
	s_cbranch_vccnz .LBB11_10
; %bb.23:                               ;   in Loop: Header=BB11_12 Depth=1
	s_add_u32 s42, s8, s6
	s_addc_u32 s43, s9, s7
	s_add_u32 s6, s20, s6
	global_load_b32 v9, v24, s[42:43]
	s_addc_u32 s7, s21, s7
	s_waitcnt vmcnt(0)
	v_readfirstlane_b32 s42, v9
.LBB11_24:                              ;   Parent Loop BB11_12 Depth=1
                                        ; =>  This Inner Loop Header: Depth=2
	global_load_b32 v9, v24, s[6:7] glc
	s_waitcnt vmcnt(0)
	v_cmp_eq_u32_e32 vcc_lo, 0, v9
	s_cbranch_vccnz .LBB11_24
; %bb.25:                               ;   in Loop: Header=BB11_12 Depth=1
	s_waitcnt lgkmcnt(0)
	buffer_gl1_inv
	buffer_gl0_inv
	s_and_saveexec_b32 s6, s0
	s_cbranch_execz .LBB11_35
; %bb.26:                               ;   in Loop: Header=BB11_12 Depth=1
	s_mul_i32 s7, s35, s25
	v_mov_b32_e32 v13, v17
	v_add_nc_u32_e32 v9, s7, v5
	s_mov_b32 s43, 0
	s_delay_alu instid0(VALU_DEP_1)
	v_mul_lo_u32 v12, s25, v9
	v_mov_b32_e32 v9, v5
	s_set_inst_prefetch_distance 0x1
	s_branch .LBB11_28
	.p2align	6
.LBB11_27:                              ;   in Loop: Header=BB11_28 Depth=2
	s_or_b32 exec_lo, exec_lo, s44
	v_add_nc_u32_e32 v9, 32, v9
	v_add_nc_u32_e32 v12, s41, v12
	;; [unrolled: 1-line block ×3, first 2 shown]
	s_delay_alu instid0(VALU_DEP_3) | instskip(SKIP_1) | instid1(SALU_CYCLE_1)
	v_cmp_le_i32_e32 vcc_lo, s25, v9
	s_or_b32 s43, vcc_lo, s43
	s_and_not1_b32 exec_lo, exec_lo, s43
	s_cbranch_execz .LBB11_35
.LBB11_28:                              ;   Parent Loop BB11_12 Depth=1
                                        ; =>  This Loop Header: Depth=2
                                        ;       Child Loop BB11_31 Depth 3
	s_and_saveexec_b32 s44, s2
	s_cbranch_execz .LBB11_27
; %bb.29:                               ;   in Loop: Header=BB11_28 Depth=2
	v_dual_mov_b32 v25, v13 :: v_dual_mov_b32 v26, v15
	s_mov_b32 s45, 0
	s_branch .LBB11_31
	.p2align	6
.LBB11_30:                              ;   in Loop: Header=BB11_31 Depth=3
	s_delay_alu instid0(VALU_DEP_1) | instskip(SKIP_1) | instid1(VALU_DEP_2)
	v_ashrrev_i32_e32 v11, 31, v10
	v_add_nc_u32_e32 v26, 2, v26
	v_lshlrev_b64 v[10:11], 3, v[10:11]
	s_delay_alu instid0(VALU_DEP_1) | instskip(NEXT) | instid1(VALU_DEP_2)
	v_add_co_u32 v10, vcc_lo, s12, v10
	v_add_co_ci_u32_e32 v11, vcc_lo, s13, v11, vcc_lo
	s_delay_alu instid0(VALU_DEP_4)
	v_cmp_le_i32_e32 vcc_lo, s25, v26
	global_load_b64 v[10:11], v[10:11], off
	s_or_b32 s45, vcc_lo, s45
	s_waitcnt vmcnt(0)
	ds_store_b64 v25, v[10:11]
	v_add_nc_u32_e32 v25, 0x210, v25
	s_and_not1_b32 exec_lo, exec_lo, s45
	s_cbranch_execz .LBB11_27
.LBB11_31:                              ;   Parent Loop BB11_12 Depth=1
                                        ;     Parent Loop BB11_28 Depth=2
                                        ; =>    This Inner Loop Header: Depth=3
	s_and_b32 vcc_lo, exec_lo, s29
	s_cbranch_vccz .LBB11_33
; %bb.32:                               ;   in Loop: Header=BB11_31 Depth=3
	v_add_nc_u32_e32 v27, s7, v26
	s_delay_alu instid0(VALU_DEP_1)
	v_mad_u64_u32 v[10:11], null, v27, s25, v[9:10]
	s_cbranch_execnz .LBB11_30
	s_branch .LBB11_34
	.p2align	6
.LBB11_33:                              ;   in Loop: Header=BB11_31 Depth=3
                                        ; implicit-def: $vgpr10
.LBB11_34:                              ;   in Loop: Header=BB11_31 Depth=3
	v_add_nc_u32_e32 v10, v12, v26
	s_branch .LBB11_30
.LBB11_35:                              ;   in Loop: Header=BB11_12 Depth=1
	s_set_inst_prefetch_distance 0x2
	s_or_b32 exec_lo, exec_lo, s6
	s_delay_alu instid0(SALU_CYCLE_1)
	s_and_not1_b32 vcc_lo, exec_lo, s37
	s_waitcnt lgkmcnt(0)
	buffer_gl0_inv
	s_cbranch_vccnz .LBB11_46
; %bb.36:                               ;   in Loop: Header=BB11_12 Depth=1
	v_mov_b32_e32 v13, v22
	v_mov_b32_e32 v25, v21
	s_mov_b32 s7, 0
	s_branch .LBB11_38
.LBB11_37:                              ;   in Loop: Header=BB11_38 Depth=2
	s_or_b32 exec_lo, exec_lo, s43
	v_add_nc_u32_e32 v25, 0x108, v25
	v_add_nc_u32_e32 v13, 0x110, v13
	s_add_i32 s7, s7, 1
	s_waitcnt lgkmcnt(0)
	buffer_gl0_inv
	s_cmp_eq_u32 s7, s25
	s_cbranch_scc1 .LBB11_46
.LBB11_38:                              ;   Parent Loop BB11_12 Depth=1
                                        ; =>  This Loop Header: Depth=2
                                        ;       Child Loop BB11_41 Depth 3
                                        ;         Child Loop BB11_45 Depth 4
	s_and_saveexec_b32 s43, s0
	s_cbranch_execz .LBB11_37
; %bb.39:                               ;   in Loop: Header=BB11_38 Depth=2
	s_lshl_b32 s6, s7, 3
	s_mul_i32 s44, s7, 0x108
	v_mov_b32_e32 v27, v25
	s_add_i32 s6, s44, s6
	s_delay_alu instid0(SALU_CYCLE_1) | instskip(SKIP_2) | instid1(VALU_DEP_2)
	v_dual_mov_b32 v9, s6 :: v_dual_add_nc_u32 v26, s7, v16
	v_mov_b32_e32 v28, v5
	s_mov_b32 s45, 0
	v_cmp_gt_i32_e64 s6, s25, v26
	ds_load_b64 v[9:10], v9
	s_branch .LBB11_41
.LBB11_40:                              ;   in Loop: Header=BB11_41 Depth=3
	s_or_b32 exec_lo, exec_lo, s46
	v_add_nc_u32_e32 v28, 32, v28
	v_add_nc_u32_e32 v27, 0x100, v27
	s_delay_alu instid0(VALU_DEP_2) | instskip(SKIP_1) | instid1(SALU_CYCLE_1)
	v_cmp_le_i32_e32 vcc_lo, s25, v28
	s_or_b32 s45, vcc_lo, s45
	s_and_not1_b32 exec_lo, exec_lo, s45
	s_cbranch_execz .LBB11_37
.LBB11_41:                              ;   Parent Loop BB11_12 Depth=1
                                        ;     Parent Loop BB11_38 Depth=2
                                        ; =>    This Loop Header: Depth=3
                                        ;         Child Loop BB11_45 Depth 4
	v_lshl_add_u32 v29, v28, 3, s44
	ds_load_b64 v[11:12], v29 offset:8448
	s_waitcnt lgkmcnt(0)
	buffer_gl0_inv
	v_div_scale_f64 v[30:31], null, v[9:10], v[9:10], v[11:12]
	s_delay_alu instid0(VALU_DEP_1) | instskip(SKIP_2) | instid1(VALU_DEP_1)
	v_rcp_f64_e32 v[32:33], v[30:31]
	s_waitcnt_depctr 0xfff
	v_fma_f64 v[34:35], -v[30:31], v[32:33], 1.0
	v_fma_f64 v[32:33], v[32:33], v[34:35], v[32:33]
	s_delay_alu instid0(VALU_DEP_1) | instskip(NEXT) | instid1(VALU_DEP_1)
	v_fma_f64 v[34:35], -v[30:31], v[32:33], 1.0
	v_fma_f64 v[32:33], v[32:33], v[34:35], v[32:33]
	v_div_scale_f64 v[34:35], vcc_lo, v[11:12], v[9:10], v[11:12]
	s_delay_alu instid0(VALU_DEP_1) | instskip(NEXT) | instid1(VALU_DEP_1)
	v_mul_f64 v[36:37], v[34:35], v[32:33]
	v_fma_f64 v[30:31], -v[30:31], v[36:37], v[34:35]
	s_delay_alu instid0(VALU_DEP_1) | instskip(NEXT) | instid1(VALU_DEP_1)
	v_div_fmas_f64 v[30:31], v[30:31], v[32:33], v[36:37]
	v_div_fixup_f64 v[11:12], v[30:31], v[9:10], v[11:12]
	s_and_saveexec_b32 s46, s3
	s_cbranch_execz .LBB11_43
; %bb.42:                               ;   in Loop: Header=BB11_41 Depth=3
	v_add_nc_u32_e32 v29, 0x2100, v29
	ds_store_b64 v29, v[11:12]
.LBB11_43:                              ;   in Loop: Header=BB11_41 Depth=3
	s_or_b32 exec_lo, exec_lo, s46
	s_and_saveexec_b32 s46, s6
	s_cbranch_execz .LBB11_40
; %bb.44:                               ;   in Loop: Header=BB11_41 Depth=3
	v_dual_mov_b32 v29, v13 :: v_dual_mov_b32 v30, v27
	v_mov_b32_e32 v31, v26
	s_mov_b32 s47, 0
	.p2align	6
.LBB11_45:                              ;   Parent Loop BB11_12 Depth=1
                                        ;     Parent Loop BB11_38 Depth=2
                                        ;       Parent Loop BB11_41 Depth=3
                                        ; =>      This Inner Loop Header: Depth=4
	ds_load_b64 v[32:33], v29
	ds_load_b64 v[34:35], v30
	v_add_nc_u32_e32 v31, 2, v31
	v_add_nc_u32_e32 v29, 0x210, v29
	s_delay_alu instid0(VALU_DEP_2)
	v_cmp_le_i32_e32 vcc_lo, s25, v31
	s_or_b32 s47, vcc_lo, s47
	s_waitcnt lgkmcnt(0)
	v_fma_f64 v[32:33], -v[11:12], v[32:33], v[34:35]
	ds_store_b64 v30, v[32:33]
	v_add_nc_u32_e32 v30, 0x210, v30
	s_and_not1_b32 exec_lo, exec_lo, s47
	s_cbranch_execnz .LBB11_45
	s_branch .LBB11_40
.LBB11_46:                              ;   in Loop: Header=BB11_12 Depth=1
	s_and_saveexec_b32 s7, s0
	s_cbranch_execz .LBB11_56
; %bb.47:                               ;   in Loop: Header=BB11_12 Depth=1
	v_dual_mov_b32 v25, v20 :: v_dual_mov_b32 v26, v18
	v_mov_b32_e32 v9, v5
	s_mul_i32 s43, s34, s25
	s_mov_b32 s44, 0
	s_set_inst_prefetch_distance 0x1
	s_branch .LBB11_49
	.p2align	6
.LBB11_48:                              ;   in Loop: Header=BB11_49 Depth=2
	s_or_b32 exec_lo, exec_lo, s45
	v_add_nc_u32_e32 v9, 32, v9
	v_add_nc_u32_e32 v26, s41, v26
	;; [unrolled: 1-line block ×3, first 2 shown]
	s_delay_alu instid0(VALU_DEP_3) | instskip(SKIP_1) | instid1(SALU_CYCLE_1)
	v_cmp_le_i32_e32 vcc_lo, s25, v9
	s_or_b32 s44, vcc_lo, s44
	s_and_not1_b32 exec_lo, exec_lo, s44
	s_cbranch_execz .LBB11_56
.LBB11_49:                              ;   Parent Loop BB11_12 Depth=1
                                        ; =>  This Loop Header: Depth=2
                                        ;       Child Loop BB11_52 Depth 3
	s_and_saveexec_b32 s45, s2
	s_cbranch_execz .LBB11_48
; %bb.50:                               ;   in Loop: Header=BB11_49 Depth=2
	v_dual_mov_b32 v27, v25 :: v_dual_mov_b32 v28, v15
	s_mov_b32 s46, 0
	s_branch .LBB11_52
	.p2align	6
.LBB11_51:                              ;   in Loop: Header=BB11_52 Depth=3
	s_delay_alu instid0(VALU_DEP_1) | instskip(SKIP_2) | instid1(VALU_DEP_3)
	v_ashrrev_i32_e32 v13, 31, v12
	v_add_nc_u32_e32 v28, 2, v28
	v_add_nc_u32_e32 v27, 0x210, v27
	v_lshlrev_b64 v[12:13], 3, v[12:13]
	s_delay_alu instid0(VALU_DEP_3) | instskip(SKIP_1) | instid1(VALU_DEP_2)
	v_cmp_le_i32_e32 vcc_lo, s25, v28
	s_or_b32 s46, vcc_lo, s46
	v_add_co_u32 v12, s6, s12, v12
	s_delay_alu instid0(VALU_DEP_1)
	v_add_co_ci_u32_e64 v13, s6, s13, v13, s6
	s_waitcnt lgkmcnt(0)
	global_store_b64 v[12:13], v[10:11], off
	s_and_not1_b32 exec_lo, exec_lo, s46
	s_cbranch_execz .LBB11_48
.LBB11_52:                              ;   Parent Loop BB11_12 Depth=1
                                        ;     Parent Loop BB11_49 Depth=2
                                        ; =>    This Inner Loop Header: Depth=3
	ds_load_b64 v[10:11], v27
	s_and_b32 vcc_lo, exec_lo, s29
	s_cbranch_vccz .LBB11_54
; %bb.53:                               ;   in Loop: Header=BB11_52 Depth=3
	v_add_nc_u32_e32 v29, s43, v28
	s_waitcnt lgkmcnt(0)
	s_delay_alu instid0(VALU_DEP_1)
	v_mad_u64_u32 v[12:13], null, v29, s25, v[9:10]
	s_cbranch_execnz .LBB11_51
	s_branch .LBB11_55
	.p2align	6
.LBB11_54:                              ;   in Loop: Header=BB11_52 Depth=3
                                        ; implicit-def: $vgpr12
.LBB11_55:                              ;   in Loop: Header=BB11_52 Depth=3
	v_add_nc_u32_e32 v12, v26, v28
	s_branch .LBB11_51
.LBB11_56:                              ;   in Loop: Header=BB11_12 Depth=1
	s_set_inst_prefetch_distance 0x2
	s_or_b32 exec_lo, exec_lo, s7
	s_sub_i32 s42, s42, s24
	s_add_i32 s6, s35, 1
	s_delay_alu instid0(SALU_CYCLE_1)
	s_cmp_ge_i32 s6, s42
	s_cbranch_scc1 .LBB11_11
; %bb.57:                               ;   in Loop: Header=BB11_12 Depth=1
	v_mad_u64_u32 v[9:10], null, s25, s6, v[5:6]
	s_delay_alu instid0(VALU_DEP_1)
	v_mul_lo_u32 v25, s25, v9
	s_branch .LBB11_61
.LBB11_58:                              ;   in Loop: Header=BB11_61 Depth=2
	s_or_b32 exec_lo, exec_lo, s35
.LBB11_59:                              ;   in Loop: Header=BB11_61 Depth=2
	s_delay_alu instid0(SALU_CYCLE_1)
	s_or_b32 exec_lo, exec_lo, s7
.LBB11_60:                              ;   in Loop: Header=BB11_61 Depth=2
	v_add_nc_u32_e32 v25, s40, v25
	s_add_i32 s6, s6, 1
	s_waitcnt lgkmcnt(0)
	s_waitcnt_vscnt null, 0x0
	buffer_gl0_inv
	s_cmp_lt_i32 s6, s42
	s_cbranch_scc0 .LBB11_11
.LBB11_61:                              ;   Parent Loop BB11_12 Depth=1
                                        ; =>  This Loop Header: Depth=2
                                        ;       Child Loop BB11_66 Depth 3
                                        ;       Child Loop BB11_75 Depth 3
                                        ;         Child Loop BB11_78 Depth 4
                                        ;       Child Loop BB11_84 Depth 3
                                        ;         Child Loop BB11_87 Depth 4
                                        ;           Child Loop BB11_88 Depth 5
	s_ashr_i32 s7, s6, 31
	v_mov_b32_e32 v10, s31
	s_lshl_b64 s[44:45], s[6:7], 2
	s_delay_alu instid0(SALU_CYCLE_1)
	s_add_u32 s44, s10, s44
	s_addc_u32 s45, s11, s45
	global_load_b32 v9, v24, s[44:45]
	s_and_saveexec_b32 s7, s4
	s_cbranch_execz .LBB11_63
; %bb.62:                               ;   in Loop: Header=BB11_61 Depth=2
	global_load_b32 v10, v[7:8], off
	s_waitcnt vmcnt(0)
	v_subrev_nc_u32_e32 v10, s24, v10
.LBB11_63:                              ;   in Loop: Header=BB11_61 Depth=2
	s_or_b32 exec_lo, exec_lo, s7
	s_waitcnt vmcnt(0)
	v_subrev_nc_u32_e32 v11, s24, v9
	v_mov_b32_e32 v12, v6
	s_mov_b32 s7, exec_lo
	s_delay_alu instid0(VALU_DEP_2)
	v_cmpx_lt_i32_e64 v10, v11
	s_cbranch_execz .LBB11_69
; %bb.64:                               ;   in Loop: Header=BB11_61 Depth=2
	v_mov_b32_e32 v9, v6
	s_mov_b32 s35, 0
	s_branch .LBB11_66
	.p2align	6
.LBB11_65:                              ;   in Loop: Header=BB11_66 Depth=3
	s_or_b32 exec_lo, exec_lo, s43
	s_delay_alu instid0(VALU_DEP_1) | instskip(SKIP_2) | instid1(SALU_CYCLE_1)
	v_cmp_ge_i32_e32 vcc_lo, v10, v11
	v_mov_b32_e32 v9, v12
	s_or_b32 s35, vcc_lo, s35
	s_and_not1_b32 exec_lo, exec_lo, s35
	s_cbranch_execz .LBB11_68
.LBB11_66:                              ;   Parent Loop BB11_12 Depth=1
                                        ;     Parent Loop BB11_61 Depth=2
                                        ; =>    This Inner Loop Header: Depth=3
	s_delay_alu instid0(VALU_DEP_1) | instskip(SKIP_2) | instid1(VALU_DEP_2)
	v_add_nc_u32_e32 v12, 64, v9
	v_mov_b32_e32 v10, s31
	s_mov_b32 s43, exec_lo
	v_cmpx_gt_i32_e64 s33, v12
	s_cbranch_execz .LBB11_65
; %bb.67:                               ;   in Loop: Header=BB11_66 Depth=3
	v_ashrrev_i32_e32 v10, 31, v9
	s_delay_alu instid0(VALU_DEP_1) | instskip(NEXT) | instid1(VALU_DEP_1)
	v_lshlrev_b64 v[9:10], 2, v[9:10]
	v_add_co_u32 v9, vcc_lo, s38, v9
	s_delay_alu instid0(VALU_DEP_2)
	v_add_co_ci_u32_e32 v10, vcc_lo, s39, v10, vcc_lo
	global_load_b32 v9, v[9:10], off
	s_waitcnt vmcnt(0)
	v_subrev_nc_u32_e32 v10, s24, v9
	s_branch .LBB11_65
.LBB11_68:                              ;   in Loop: Header=BB11_61 Depth=2
	s_or_b32 exec_lo, exec_lo, s35
.LBB11_69:                              ;   in Loop: Header=BB11_61 Depth=2
	s_delay_alu instid0(SALU_CYCLE_1)
	s_or_b32 exec_lo, exec_lo, s7
	v_cmp_eq_u32_e32 vcc_lo, v10, v11
	s_cbranch_vccz .LBB11_60
; %bb.70:                               ;   in Loop: Header=BB11_61 Depth=2
	s_ctz_i32_b32 s7, vcc_lo
	s_delay_alu instid0(SALU_CYCLE_1) | instskip(NEXT) | instid1(SALU_CYCLE_1)
	s_lshl_b32 s7, s7, 2
	v_mov_b32_e32 v9, s7
	ds_bpermute_b32 v12, v9, v12
	s_and_saveexec_b32 s7, s1
	s_delay_alu instid0(SALU_CYCLE_1)
	s_xor_b32 s7, exec_lo, s7
	s_cbranch_execz .LBB11_72
; %bb.71:                               ;   in Loop: Header=BB11_61 Depth=2
	s_waitcnt lgkmcnt(0)
	s_waitcnt_vscnt null, 0x0
	buffer_gl0_inv
                                        ; implicit-def: $vgpr12
.LBB11_72:                              ;   in Loop: Header=BB11_61 Depth=2
	s_and_not1_saveexec_b32 s7, s7
	s_cbranch_execz .LBB11_59
; %bb.73:                               ;   in Loop: Header=BB11_61 Depth=2
	v_mov_b32_e32 v13, v17
	v_mov_b32_e32 v26, v25
	;; [unrolled: 1-line block ×3, first 2 shown]
	s_mul_i32 s43, s6, s25
	s_mov_b32 s35, 0
	s_set_inst_prefetch_distance 0x1
	s_branch .LBB11_75
	.p2align	6
.LBB11_74:                              ;   in Loop: Header=BB11_75 Depth=3
	s_or_b32 exec_lo, exec_lo, s44
	v_add_nc_u32_e32 v9, 32, v9
	v_add_nc_u32_e32 v26, s41, v26
	;; [unrolled: 1-line block ×3, first 2 shown]
	s_delay_alu instid0(VALU_DEP_3) | instskip(SKIP_1) | instid1(SALU_CYCLE_1)
	v_cmp_le_i32_e32 vcc_lo, s25, v9
	s_or_b32 s35, vcc_lo, s35
	s_and_not1_b32 exec_lo, exec_lo, s35
	s_cbranch_execz .LBB11_82
.LBB11_75:                              ;   Parent Loop BB11_12 Depth=1
                                        ;     Parent Loop BB11_61 Depth=2
                                        ; =>    This Loop Header: Depth=3
                                        ;         Child Loop BB11_78 Depth 4
	s_and_saveexec_b32 s44, s2
	s_cbranch_execz .LBB11_74
; %bb.76:                               ;   in Loop: Header=BB11_75 Depth=3
	v_dual_mov_b32 v27, v13 :: v_dual_mov_b32 v28, v15
	s_mov_b32 s45, 0
	s_branch .LBB11_78
	.p2align	6
.LBB11_77:                              ;   in Loop: Header=BB11_78 Depth=4
	s_delay_alu instid0(VALU_DEP_1) | instskip(SKIP_1) | instid1(VALU_DEP_2)
	v_ashrrev_i32_e32 v11, 31, v10
	v_add_nc_u32_e32 v28, 2, v28
	v_lshlrev_b64 v[10:11], 3, v[10:11]
	s_delay_alu instid0(VALU_DEP_1) | instskip(NEXT) | instid1(VALU_DEP_2)
	v_add_co_u32 v10, vcc_lo, s12, v10
	v_add_co_ci_u32_e32 v11, vcc_lo, s13, v11, vcc_lo
	s_delay_alu instid0(VALU_DEP_4)
	v_cmp_le_i32_e32 vcc_lo, s25, v28
	global_load_b64 v[10:11], v[10:11], off
	s_or_b32 s45, vcc_lo, s45
	s_waitcnt vmcnt(0)
	ds_store_b64 v27, v[10:11]
	v_add_nc_u32_e32 v27, 0x210, v27
	s_and_not1_b32 exec_lo, exec_lo, s45
	s_cbranch_execz .LBB11_74
.LBB11_78:                              ;   Parent Loop BB11_12 Depth=1
                                        ;     Parent Loop BB11_61 Depth=2
                                        ;       Parent Loop BB11_75 Depth=3
                                        ; =>      This Inner Loop Header: Depth=4
	s_and_b32 vcc_lo, exec_lo, s29
	s_cbranch_vccz .LBB11_80
; %bb.79:                               ;   in Loop: Header=BB11_78 Depth=4
	v_add_nc_u32_e32 v29, s43, v28
	s_delay_alu instid0(VALU_DEP_1)
	v_mad_u64_u32 v[10:11], null, v29, s25, v[9:10]
	s_cbranch_execnz .LBB11_77
	s_branch .LBB11_81
	.p2align	6
.LBB11_80:                              ;   in Loop: Header=BB11_78 Depth=4
                                        ; implicit-def: $vgpr10
.LBB11_81:                              ;   in Loop: Header=BB11_78 Depth=4
	v_add_nc_u32_e32 v10, v26, v28
	s_branch .LBB11_77
.LBB11_82:                              ;   in Loop: Header=BB11_61 Depth=2
	s_set_inst_prefetch_distance 0x2
	s_or_b32 exec_lo, exec_lo, s35
	s_waitcnt lgkmcnt(0)
	v_mul_lo_u32 v26, v12, s25
	v_mov_b32_e32 v27, v23
	v_mov_b32_e32 v9, v5
	s_mov_b32 s35, 0
	s_waitcnt_vscnt null, 0x0
	buffer_gl0_inv
	s_branch .LBB11_84
.LBB11_83:                              ;   in Loop: Header=BB11_84 Depth=3
	s_or_b32 exec_lo, exec_lo, s43
	v_add_nc_u32_e32 v9, 32, v9
	v_add_nc_u32_e32 v27, 0x100, v27
	s_delay_alu instid0(VALU_DEP_2) | instskip(SKIP_1) | instid1(SALU_CYCLE_1)
	v_cmp_le_i32_e32 vcc_lo, s25, v9
	s_or_b32 s35, vcc_lo, s35
	s_and_not1_b32 exec_lo, exec_lo, s35
	s_cbranch_execz .LBB11_58
.LBB11_84:                              ;   Parent Loop BB11_12 Depth=1
                                        ;     Parent Loop BB11_61 Depth=2
                                        ; =>    This Loop Header: Depth=3
                                        ;         Child Loop BB11_87 Depth 4
                                        ;           Child Loop BB11_88 Depth 5
	s_and_saveexec_b32 s43, s2
	s_cbranch_execz .LBB11_83
; %bb.85:                               ;   in Loop: Header=BB11_84 Depth=3
	v_dual_mov_b32 v29, v19 :: v_dual_add_nc_u32 v10, v9, v26
	v_mov_b32_e32 v30, v15
	s_mov_b32 s44, 0
	s_delay_alu instid0(VALU_DEP_2)
	v_mul_lo_u32 v28, v10, s25
	s_branch .LBB11_87
.LBB11_86:                              ;   in Loop: Header=BB11_87 Depth=4
	s_delay_alu instid0(VALU_DEP_1) | instskip(SKIP_2) | instid1(VALU_DEP_3)
	v_ashrrev_i32_e32 v13, 31, v12
	v_add_nc_u32_e32 v30, 2, v30
	v_add_nc_u32_e32 v29, 0x210, v29
	v_lshlrev_b64 v[12:13], 3, v[12:13]
	s_delay_alu instid0(VALU_DEP_1) | instskip(NEXT) | instid1(VALU_DEP_2)
	v_add_co_u32 v12, vcc_lo, s12, v12
	v_add_co_ci_u32_e32 v13, vcc_lo, s13, v13, vcc_lo
	v_cmp_le_i32_e32 vcc_lo, s25, v30
	global_load_b64 v[31:32], v[12:13], off
	s_or_b32 s44, vcc_lo, s44
	s_waitcnt vmcnt(0)
	v_add_f64 v[10:11], v[31:32], -v[10:11]
	global_store_b64 v[12:13], v[10:11], off
	s_and_not1_b32 exec_lo, exec_lo, s44
	s_cbranch_execz .LBB11_83
.LBB11_87:                              ;   Parent Loop BB11_12 Depth=1
                                        ;     Parent Loop BB11_61 Depth=2
                                        ;       Parent Loop BB11_84 Depth=3
                                        ; =>      This Loop Header: Depth=4
                                        ;           Child Loop BB11_88 Depth 5
	v_dual_mov_b32 v10, 0 :: v_dual_mov_b32 v13, v29
	v_dual_mov_b32 v11, 0 :: v_dual_mov_b32 v12, v27
	s_mov_b32 s45, s25
.LBB11_88:                              ;   Parent Loop BB11_12 Depth=1
                                        ;     Parent Loop BB11_61 Depth=2
                                        ;       Parent Loop BB11_84 Depth=3
                                        ;         Parent Loop BB11_87 Depth=4
                                        ; =>        This Inner Loop Header: Depth=5
	ds_load_b64 v[31:32], v12
	ds_load_b64 v[33:34], v13
	v_add_nc_u32_e32 v13, 8, v13
	v_add_nc_u32_e32 v12, 0x108, v12
	s_add_i32 s45, s45, -1
	s_delay_alu instid0(SALU_CYCLE_1)
	s_cmp_eq_u32 s45, 0
	s_waitcnt lgkmcnt(0)
	v_fma_f64 v[10:11], v[31:32], v[33:34], v[10:11]
	s_cbranch_scc0 .LBB11_88
; %bb.89:                               ;   in Loop: Header=BB11_87 Depth=4
	s_and_b32 vcc_lo, exec_lo, s29
	s_cbranch_vccz .LBB11_91
; %bb.90:                               ;   in Loop: Header=BB11_87 Depth=4
	v_add_nc_u32_e32 v31, v30, v26
	s_delay_alu instid0(VALU_DEP_1)
	v_mad_u64_u32 v[12:13], null, v31, s25, v[9:10]
	s_cbranch_execnz .LBB11_86
	s_branch .LBB11_92
.LBB11_91:                              ;   in Loop: Header=BB11_87 Depth=4
                                        ; implicit-def: $vgpr12
.LBB11_92:                              ;   in Loop: Header=BB11_87 Depth=4
	v_add_nc_u32_e32 v12, v30, v28
	s_branch .LBB11_86
.LBB11_93:
	s_ashr_i32 s29, s28, 31
	v_mov_b32_e32 v5, 0
	s_lshl_b64 s[0:1], s[28:29], 2
	s_delay_alu instid0(SALU_CYCLE_1) | instskip(SKIP_4) | instid1(VALU_DEP_1)
	s_add_u32 s0, s10, s0
	s_addc_u32 s1, s11, s1
	global_load_b32 v5, v5, s[0:1]
	s_waitcnt vmcnt(0)
	v_subrev_nc_u32_e32 v5, s24, v5
	v_cmp_ne_u32_e32 vcc_lo, s22, v5
	s_cbranch_vccnz .LBB11_138
; %bb.94:
	v_and_b32_e32 v5, 0x3ff, v0
	s_delay_alu instid0(VALU_DEP_1) | instskip(NEXT) | instid1(VALU_DEP_1)
	v_cmp_gt_i32_e64 s0, s25, v5
	s_and_saveexec_b32 s2, s0
	s_cbranch_execz .LBB11_105
; %bb.95:
	s_mul_i32 s3, s28, s25
	v_bfe_u32 v9, v0, 10, 10
	v_add_nc_u32_e32 v6, s3, v5
	v_lshlrev_b32_e32 v7, 3, v5
	s_cmp_lg_u32 s30, 0
	s_mov_b32 s4, 0
	v_cmp_gt_u32_e64 s1, s25, v9
	v_mul_lo_u32 v10, s25, v6
	v_mov_b32_e32 v6, v5
	v_mad_u32_u24 v11, 0x108, v9, v7
	s_cselect_b32 s5, -1, 0
	s_lshl_b32 s6, s25, 5
	s_set_inst_prefetch_distance 0x1
	s_branch .LBB11_97
	.p2align	6
.LBB11_96:                              ;   in Loop: Header=BB11_97 Depth=1
	s_or_b32 exec_lo, exec_lo, s7
	v_add_nc_u32_e32 v6, 32, v6
	v_add_nc_u32_e32 v10, s6, v10
	;; [unrolled: 1-line block ×3, first 2 shown]
	s_delay_alu instid0(VALU_DEP_3) | instskip(SKIP_1) | instid1(SALU_CYCLE_1)
	v_cmp_le_i32_e32 vcc_lo, s25, v6
	s_or_b32 s4, vcc_lo, s4
	s_and_not1_b32 exec_lo, exec_lo, s4
	s_cbranch_execz .LBB11_105
.LBB11_97:                              ; =>This Loop Header: Depth=1
                                        ;     Child Loop BB11_100 Depth 2
	s_and_saveexec_b32 s7, s1
	s_cbranch_execz .LBB11_96
; %bb.98:                               ;   in Loop: Header=BB11_97 Depth=1
	v_dual_mov_b32 v12, v11 :: v_dual_mov_b32 v13, v9
	s_mov_b32 s8, 0
	s_branch .LBB11_100
	.p2align	6
.LBB11_99:                              ;   in Loop: Header=BB11_100 Depth=2
	s_delay_alu instid0(VALU_DEP_1) | instskip(SKIP_1) | instid1(VALU_DEP_2)
	v_ashrrev_i32_e32 v8, 31, v7
	v_add_nc_u32_e32 v13, 2, v13
	v_lshlrev_b64 v[7:8], 3, v[7:8]
	s_delay_alu instid0(VALU_DEP_1) | instskip(NEXT) | instid1(VALU_DEP_2)
	v_add_co_u32 v7, vcc_lo, s12, v7
	v_add_co_ci_u32_e32 v8, vcc_lo, s13, v8, vcc_lo
	s_delay_alu instid0(VALU_DEP_4)
	v_cmp_le_i32_e32 vcc_lo, s25, v13
	global_load_b64 v[7:8], v[7:8], off
	s_or_b32 s8, vcc_lo, s8
	s_waitcnt vmcnt(0)
	ds_store_b64 v12, v[7:8]
	v_add_nc_u32_e32 v12, 0x210, v12
	s_and_not1_b32 exec_lo, exec_lo, s8
	s_cbranch_execz .LBB11_96
.LBB11_100:                             ;   Parent Loop BB11_97 Depth=1
                                        ; =>  This Inner Loop Header: Depth=2
	s_and_b32 vcc_lo, exec_lo, s5
	s_cbranch_vccz .LBB11_102
; %bb.101:                              ;   in Loop: Header=BB11_100 Depth=2
	v_add_nc_u32_e32 v15, s3, v13
	s_delay_alu instid0(VALU_DEP_1)
	v_mad_u64_u32 v[7:8], null, v15, s25, v[6:7]
	s_cbranch_execnz .LBB11_99
	s_branch .LBB11_103
	.p2align	6
.LBB11_102:                             ;   in Loop: Header=BB11_100 Depth=2
                                        ; implicit-def: $vgpr7
.LBB11_103:                             ;   in Loop: Header=BB11_100 Depth=2
	v_add_nc_u32_e32 v7, v10, v13
	s_branch .LBB11_99
.LBB11_104:
	s_mov_b32 s23, -1
	s_branch .LBB11_171
.LBB11_105:
	s_set_inst_prefetch_distance 0x2
	s_or_b32 exec_lo, exec_lo, s2
	s_cmp_lt_i32 s25, 1
	s_waitcnt lgkmcnt(0)
	s_waitcnt_vscnt null, 0x0
	buffer_gl0_inv
	s_cbranch_scc1 .LBB11_127
; %bb.106:
	v_cvt_f64_f32_e32 v[7:8], v14
	v_bfe_u32 v12, v0, 10, 10
	s_cmp_eq_u64 s[16:17], 8
	v_lshl_add_u32 v13, v5, 3, 0x110
	s_cselect_b32 vcc_lo, -1, 0
	s_mov_b32 s4, 0
	v_or_b32_e32 v9, v5, v12
	v_cmp_eq_u32_e64 s1, 0, v12
	v_mul_u32_u24_e32 v6, 0x108, v12
	s_delay_alu instid0(VALU_DEP_3)
	v_cmp_eq_u32_e64 s2, 0, v9
	v_dual_cndmask_b32 v4, v8, v4 :: v_dual_cndmask_b32 v3, v7, v3
.LBB11_107:                             ; =>This Loop Header: Depth=1
                                        ;     Child Loop BB11_119 Depth 2
                                        ;       Child Loop BB11_123 Depth 3
	s_lshl_b32 s3, s4, 3
	s_mul_i32 s5, s4, 0x108
	s_and_not1_b32 vcc_lo, exec_lo, s36
	s_add_i32 s3, s5, s3
	s_delay_alu instid0(SALU_CYCLE_1)
	v_mov_b32_e32 v7, s3
	s_waitcnt lgkmcnt(0)
	ds_load_b64 v[9:10], v7
	s_cbranch_vccnz .LBB11_111
; %bb.108:                              ;   in Loop: Header=BB11_107 Depth=1
	s_waitcnt lgkmcnt(0)
	v_cmp_gt_f64_e32 vcc_lo, 0, v[9:10]
	v_xor_b32_e32 v7, 0x80000000, v10
	buffer_gl0_inv
	v_dual_cndmask_b32 v8, v10, v7 :: v_dual_cndmask_b32 v7, v9, v9
	s_delay_alu instid0(VALU_DEP_1)
	v_cmp_le_f64_e32 vcc_lo, v[7:8], v[3:4]
	v_dual_cndmask_b32 v8, v10, v2 :: v_dual_cndmask_b32 v7, v9, v1
	s_and_saveexec_b32 s6, s2
	s_cbranch_execz .LBB11_110
; %bb.109:                              ;   in Loop: Header=BB11_107 Depth=1
	v_mov_b32_e32 v11, s3
	ds_store_b64 v11, v[7:8]
.LBB11_110:                             ;   in Loop: Header=BB11_107 Depth=1
	s_or_b32 exec_lo, exec_lo, s6
	s_mov_b32 s3, -1
	s_mov_b32 s7, 0
	s_cbranch_execz .LBB11_112
	s_branch .LBB11_113
.LBB11_111:                             ;   in Loop: Header=BB11_107 Depth=1
	s_mov_b32 s3, 0
                                        ; implicit-def: $vgpr7_vgpr8
	s_mov_b32 s7, 0
.LBB11_112:                             ;   in Loop: Header=BB11_107 Depth=1
	s_waitcnt lgkmcnt(0)
	v_cmp_neq_f64_e64 s3, 0, v[9:10]
	v_dual_mov_b32 v7, v9 :: v_dual_mov_b32 v8, v10
	s_mov_b32 s7, -1
.LBB11_113:                             ;   in Loop: Header=BB11_107 Depth=1
	s_delay_alu instid0(VALU_DEP_2)
	s_and_not1_b32 vcc_lo, exec_lo, s3
                                        ; implicit-def: $sgpr6
	s_cbranch_vccz .LBB11_116
; %bb.114:                              ;   in Loop: Header=BB11_107 Depth=1
	s_and_not1_b32 vcc_lo, exec_lo, s7
	s_cbranch_vccz .LBB11_125
.LBB11_115:                             ;   in Loop: Header=BB11_107 Depth=1
	s_cmp_eq_u32 s6, s25
	s_cbranch_scc0 .LBB11_126
	s_branch .LBB11_127
.LBB11_116:                             ;   in Loop: Header=BB11_107 Depth=1
	s_add_i32 s6, s4, 1
	s_mov_b32 s7, exec_lo
	v_add_nc_u32_e32 v14, s6, v5
	s_delay_alu instid0(VALU_DEP_1)
	v_cmpx_gt_i32_e64 s25, v14
	s_cbranch_execz .LBB11_124
; %bb.117:                              ;   in Loop: Header=BB11_107 Depth=1
	v_dual_mov_b32 v16, v13 :: v_dual_add_nc_u32 v15, s6, v12
	s_waitcnt lgkmcnt(0)
	v_mad_u64_u32 v[9:10], null, 0x110, s4, v[6:7]
	s_mov_b32 s8, 0
	s_delay_alu instid0(VALU_DEP_2)
	v_cmp_gt_i32_e64 s3, s25, v15
	s_branch .LBB11_119
.LBB11_118:                             ;   in Loop: Header=BB11_119 Depth=2
	s_or_b32 exec_lo, exec_lo, s9
	v_add_nc_u32_e32 v14, 32, v14
	v_add_nc_u32_e32 v16, 0x100, v16
	s_delay_alu instid0(VALU_DEP_2) | instskip(SKIP_1) | instid1(SALU_CYCLE_1)
	v_cmp_le_i32_e32 vcc_lo, s25, v14
	s_or_b32 s8, vcc_lo, s8
	s_and_not1_b32 exec_lo, exec_lo, s8
	s_cbranch_execz .LBB11_124
.LBB11_119:                             ;   Parent Loop BB11_107 Depth=1
                                        ; =>  This Loop Header: Depth=2
                                        ;       Child Loop BB11_123 Depth 3
	v_lshl_add_u32 v17, v14, 3, s5
	ds_load_b64 v[10:11], v17
	s_waitcnt lgkmcnt(0)
	buffer_gl0_inv
	v_div_scale_f64 v[18:19], null, v[7:8], v[7:8], v[10:11]
	s_delay_alu instid0(VALU_DEP_1) | instskip(SKIP_2) | instid1(VALU_DEP_1)
	v_rcp_f64_e32 v[20:21], v[18:19]
	s_waitcnt_depctr 0xfff
	v_fma_f64 v[22:23], -v[18:19], v[20:21], 1.0
	v_fma_f64 v[20:21], v[20:21], v[22:23], v[20:21]
	s_delay_alu instid0(VALU_DEP_1) | instskip(NEXT) | instid1(VALU_DEP_1)
	v_fma_f64 v[22:23], -v[18:19], v[20:21], 1.0
	v_fma_f64 v[20:21], v[20:21], v[22:23], v[20:21]
	v_div_scale_f64 v[22:23], vcc_lo, v[10:11], v[7:8], v[10:11]
	s_delay_alu instid0(VALU_DEP_1) | instskip(NEXT) | instid1(VALU_DEP_1)
	v_mul_f64 v[24:25], v[22:23], v[20:21]
	v_fma_f64 v[18:19], -v[18:19], v[24:25], v[22:23]
	s_delay_alu instid0(VALU_DEP_1) | instskip(NEXT) | instid1(VALU_DEP_1)
	v_div_fmas_f64 v[18:19], v[18:19], v[20:21], v[24:25]
	v_div_fixup_f64 v[10:11], v[18:19], v[7:8], v[10:11]
	s_and_saveexec_b32 s9, s1
	s_cbranch_execz .LBB11_121
; %bb.120:                              ;   in Loop: Header=BB11_119 Depth=2
	ds_store_b64 v17, v[10:11]
.LBB11_121:                             ;   in Loop: Header=BB11_119 Depth=2
	s_or_b32 exec_lo, exec_lo, s9
	s_and_saveexec_b32 s9, s3
	s_cbranch_execz .LBB11_118
; %bb.122:                              ;   in Loop: Header=BB11_119 Depth=2
	v_dual_mov_b32 v17, v9 :: v_dual_mov_b32 v18, v15
	s_mov_b32 s10, 0
	.p2align	6
.LBB11_123:                             ;   Parent Loop BB11_107 Depth=1
                                        ;     Parent Loop BB11_119 Depth=2
                                        ; =>    This Inner Loop Header: Depth=3
	s_delay_alu instid0(VALU_DEP_1) | instskip(NEXT) | instid1(VALU_DEP_2)
	v_add_nc_u32_e32 v23, v17, v16
	v_add_nc_u32_e32 v18, 2, v18
	ds_load_b64 v[19:20], v17 offset:264
	ds_load_b64 v[21:22], v23
	v_add_nc_u32_e32 v17, 0x210, v17
	v_cmp_le_i32_e32 vcc_lo, s25, v18
	s_or_b32 s10, vcc_lo, s10
	s_waitcnt lgkmcnt(0)
	v_fma_f64 v[19:20], -v[10:11], v[19:20], v[21:22]
	ds_store_b64 v23, v[19:20]
	s_and_not1_b32 exec_lo, exec_lo, s10
	s_cbranch_execnz .LBB11_123
	s_branch .LBB11_118
.LBB11_124:                             ;   in Loop: Header=BB11_107 Depth=1
	s_or_b32 exec_lo, exec_lo, s7
	s_cbranch_execnz .LBB11_115
.LBB11_125:                             ;   in Loop: Header=BB11_107 Depth=1
	s_add_i32 s6, s4, 1
	s_mov_b32 s23, -1
	s_cmp_eq_u32 s6, s25
	s_cbranch_scc1 .LBB11_127
.LBB11_126:                             ;   in Loop: Header=BB11_107 Depth=1
	s_mov_b32 s4, s6
	s_branch .LBB11_107
.LBB11_127:
	s_waitcnt lgkmcnt(0)
	buffer_gl0_inv
	s_and_saveexec_b32 s2, s0
	s_cbranch_execz .LBB11_137
; %bb.128:
	s_mul_i32 s3, s28, s25
	v_bfe_u32 v6, v0, 10, 10
	v_add_nc_u32_e32 v1, s3, v5
	v_lshlrev_b32_e32 v2, 3, v5
	s_cmp_lg_u32 s30, 0
	s_mov_b32 s4, 0
	v_cmp_gt_u32_e64 s0, s25, v6
	v_mul_lo_u32 v7, s25, v1
	v_mad_u32_u24 v8, 0x108, v6, v2
	s_cselect_b32 s5, -1, 0
	s_lshl_b32 s6, s25, 5
	s_set_inst_prefetch_distance 0x1
	s_branch .LBB11_130
	.p2align	6
.LBB11_129:                             ;   in Loop: Header=BB11_130 Depth=1
	s_or_b32 exec_lo, exec_lo, s7
	v_add_nc_u32_e32 v5, 32, v5
	v_add_nc_u32_e32 v7, s6, v7
	;; [unrolled: 1-line block ×3, first 2 shown]
	s_delay_alu instid0(VALU_DEP_3) | instskip(SKIP_1) | instid1(SALU_CYCLE_1)
	v_cmp_le_i32_e32 vcc_lo, s25, v5
	s_or_b32 s4, vcc_lo, s4
	s_and_not1_b32 exec_lo, exec_lo, s4
	s_cbranch_execz .LBB11_137
.LBB11_130:                             ; =>This Loop Header: Depth=1
                                        ;     Child Loop BB11_133 Depth 2
	s_and_saveexec_b32 s7, s0
	s_cbranch_execz .LBB11_129
; %bb.131:                              ;   in Loop: Header=BB11_130 Depth=1
	v_dual_mov_b32 v9, v8 :: v_dual_mov_b32 v10, v6
	s_mov_b32 s8, 0
	s_branch .LBB11_133
	.p2align	6
.LBB11_132:                             ;   in Loop: Header=BB11_133 Depth=2
	s_delay_alu instid0(VALU_DEP_1) | instskip(SKIP_2) | instid1(VALU_DEP_3)
	v_ashrrev_i32_e32 v4, 31, v3
	v_add_nc_u32_e32 v10, 2, v10
	v_add_nc_u32_e32 v9, 0x210, v9
	v_lshlrev_b64 v[3:4], 3, v[3:4]
	s_delay_alu instid0(VALU_DEP_3) | instskip(SKIP_1) | instid1(VALU_DEP_2)
	v_cmp_le_i32_e32 vcc_lo, s25, v10
	s_or_b32 s8, vcc_lo, s8
	v_add_co_u32 v3, s1, s12, v3
	s_delay_alu instid0(VALU_DEP_1)
	v_add_co_ci_u32_e64 v4, s1, s13, v4, s1
	s_waitcnt lgkmcnt(0)
	global_store_b64 v[3:4], v[1:2], off
	s_and_not1_b32 exec_lo, exec_lo, s8
	s_cbranch_execz .LBB11_129
.LBB11_133:                             ;   Parent Loop BB11_130 Depth=1
                                        ; =>  This Inner Loop Header: Depth=2
	ds_load_b64 v[1:2], v9
	s_and_b32 vcc_lo, exec_lo, s5
	s_cbranch_vccz .LBB11_135
; %bb.134:                              ;   in Loop: Header=BB11_133 Depth=2
	v_add_nc_u32_e32 v11, s3, v10
	s_delay_alu instid0(VALU_DEP_1)
	v_mad_u64_u32 v[3:4], null, v11, s25, v[5:6]
	s_cbranch_execnz .LBB11_132
	s_branch .LBB11_136
	.p2align	6
.LBB11_135:                             ;   in Loop: Header=BB11_133 Depth=2
                                        ; implicit-def: $vgpr3
.LBB11_136:                             ;   in Loop: Header=BB11_133 Depth=2
	v_add_nc_u32_e32 v3, v7, v10
	s_branch .LBB11_132
.LBB11_137:
	s_set_inst_prefetch_distance 0x2
	s_or_b32 exec_lo, exec_lo, s2
.LBB11_138:
	s_add_i32 s3, s28, 1
	s_delay_alu instid0(SALU_CYCLE_1)
	s_cmp_ge_i32 s3, s33
	s_cbranch_scc1 .LBB11_171
; %bb.139:
	v_and_b32_e32 v1, 0x3ff, v0
	v_bfe_u32 v7, v0, 10, 10
	s_cmp_lg_u32 s30, 0
	s_mul_i32 s6, s25, s25
	s_cselect_b32 s4, -1, 0
	v_mad_u64_u32 v[2:3], null, s25, s3, v[1:2]
	v_mul_u32_u24_e32 v3, 0x108, v7
	v_lshlrev_b32_e32 v4, 3, v1
	v_mul_u32_u24_e32 v5, 0x108, v1
	v_lshlrev_b32_e32 v6, 3, v7
	s_cmp_gt_i32 s25, 0
	v_cmp_gt_i32_e64 s0, s25, v1
	v_cmp_gt_i32_e64 s1, s25, v7
	v_add_nc_u32_e32 v8, 1, v7
	v_mul_lo_u32 v9, s25, v2
	v_add3_u32 v10, v3, v4, 0x2100
	v_add3_u32 v11, v6, v5, 0x2108
	v_add_nc_u32_e32 v12, 8, v6
	s_cselect_b32 s5, -1, 0
	s_lshl_b32 s7, s25, 5
.LBB11_140:                             ; =>This Loop Header: Depth=1
                                        ;     Child Loop BB11_143 Depth 2
                                        ;       Child Loop BB11_146 Depth 3
                                        ;     Child Loop BB11_153 Depth 2
                                        ;       Child Loop BB11_156 Depth 3
                                        ;         Child Loop BB11_158 Depth 4
                                        ;     Child Loop BB11_162 Depth 2
                                        ;       Child Loop BB11_165 Depth 3
	s_mul_i32 s8, s3, s25
	s_waitcnt lgkmcnt(0)
	s_waitcnt_vscnt null, 0x0
	buffer_gl0_inv
	s_and_saveexec_b32 s2, s0
	s_cbranch_execz .LBB11_150
; %bb.141:                              ;   in Loop: Header=BB11_140 Depth=1
	v_dual_mov_b32 v5, v10 :: v_dual_mov_b32 v6, v9
	v_mov_b32_e32 v2, v1
	s_mov_b32 s9, 0
	s_set_inst_prefetch_distance 0x1
	s_branch .LBB11_143
	.p2align	6
.LBB11_142:                             ;   in Loop: Header=BB11_143 Depth=2
	s_or_b32 exec_lo, exec_lo, s10
	v_add_nc_u32_e32 v2, 32, v2
	v_add_nc_u32_e32 v6, s7, v6
	;; [unrolled: 1-line block ×3, first 2 shown]
	s_delay_alu instid0(VALU_DEP_3) | instskip(SKIP_1) | instid1(SALU_CYCLE_1)
	v_cmp_le_i32_e32 vcc_lo, s25, v2
	s_or_b32 s9, vcc_lo, s9
	s_and_not1_b32 exec_lo, exec_lo, s9
	s_cbranch_execz .LBB11_150
.LBB11_143:                             ;   Parent Loop BB11_140 Depth=1
                                        ; =>  This Loop Header: Depth=2
                                        ;       Child Loop BB11_146 Depth 3
	s_and_saveexec_b32 s10, s1
	s_cbranch_execz .LBB11_142
; %bb.144:                              ;   in Loop: Header=BB11_143 Depth=2
	v_dual_mov_b32 v13, v5 :: v_dual_mov_b32 v14, v7
	s_mov_b32 s11, 0
	s_branch .LBB11_146
	.p2align	6
.LBB11_145:                             ;   in Loop: Header=BB11_146 Depth=3
	s_delay_alu instid0(VALU_DEP_1) | instskip(SKIP_1) | instid1(VALU_DEP_2)
	v_ashrrev_i32_e32 v4, 31, v3
	v_add_nc_u32_e32 v14, 2, v14
	v_lshlrev_b64 v[3:4], 3, v[3:4]
	s_delay_alu instid0(VALU_DEP_1) | instskip(NEXT) | instid1(VALU_DEP_2)
	v_add_co_u32 v3, vcc_lo, s12, v3
	v_add_co_ci_u32_e32 v4, vcc_lo, s13, v4, vcc_lo
	s_delay_alu instid0(VALU_DEP_4)
	v_cmp_le_i32_e32 vcc_lo, s25, v14
	global_load_b64 v[3:4], v[3:4], off
	s_or_b32 s11, vcc_lo, s11
	s_waitcnt vmcnt(0)
	ds_store_b64 v13, v[3:4]
	v_add_nc_u32_e32 v13, 0x210, v13
	s_and_not1_b32 exec_lo, exec_lo, s11
	s_cbranch_execz .LBB11_142
.LBB11_146:                             ;   Parent Loop BB11_140 Depth=1
                                        ;     Parent Loop BB11_143 Depth=2
                                        ; =>    This Inner Loop Header: Depth=3
	s_and_b32 vcc_lo, exec_lo, s4
	s_cbranch_vccz .LBB11_148
; %bb.147:                              ;   in Loop: Header=BB11_146 Depth=3
	v_add_nc_u32_e32 v15, s8, v14
	s_delay_alu instid0(VALU_DEP_1)
	v_mad_u64_u32 v[3:4], null, v15, s25, v[2:3]
	s_cbranch_execnz .LBB11_145
	s_branch .LBB11_149
	.p2align	6
.LBB11_148:                             ;   in Loop: Header=BB11_146 Depth=3
                                        ; implicit-def: $vgpr3
.LBB11_149:                             ;   in Loop: Header=BB11_146 Depth=3
	v_add_nc_u32_e32 v3, v6, v14
	s_branch .LBB11_145
.LBB11_150:                             ;   in Loop: Header=BB11_140 Depth=1
	s_set_inst_prefetch_distance 0x2
	s_or_b32 exec_lo, exec_lo, s2
	s_delay_alu instid0(SALU_CYCLE_1)
	s_and_not1_b32 vcc_lo, exec_lo, s5
	s_waitcnt lgkmcnt(0)
	buffer_gl0_inv
	s_cbranch_vccnz .LBB11_159
; %bb.151:                              ;   in Loop: Header=BB11_140 Depth=1
	v_dual_mov_b32 v2, v12 :: v_dual_mov_b32 v3, v11
	s_mov_b32 s9, 0
	s_branch .LBB11_153
.LBB11_152:                             ;   in Loop: Header=BB11_153 Depth=2
	s_set_inst_prefetch_distance 0x2
	s_or_b32 exec_lo, exec_lo, s10
	v_add_nc_u32_e32 v3, 8, v3
	v_add_nc_u32_e32 v2, 0x110, v2
	s_add_i32 s9, s9, 1
	s_delay_alu instid0(SALU_CYCLE_1)
	s_cmp_eq_u32 s9, s25
	s_cbranch_scc1 .LBB11_159
.LBB11_153:                             ;   Parent Loop BB11_140 Depth=1
                                        ; =>  This Loop Header: Depth=2
                                        ;       Child Loop BB11_156 Depth 3
                                        ;         Child Loop BB11_158 Depth 4
	s_and_saveexec_b32 s10, s0
	s_cbranch_execz .LBB11_152
; %bb.154:                              ;   in Loop: Header=BB11_153 Depth=2
	v_dual_mov_b32 v5, v3 :: v_dual_add_nc_u32 v4, s9, v8
	v_mov_b32_e32 v6, v1
	s_mov_b32 s11, 0
	s_lshl_b32 s14, s9, 3
	s_delay_alu instid0(VALU_DEP_2)
	v_cmp_gt_i32_e32 vcc_lo, s25, v4
	s_set_inst_prefetch_distance 0x1
	s_branch .LBB11_156
	.p2align	6
.LBB11_155:                             ;   in Loop: Header=BB11_156 Depth=3
	s_or_b32 exec_lo, exec_lo, s15
	v_add_nc_u32_e32 v6, 32, v6
	v_add_nc_u32_e32 v5, 0x2100, v5
	s_delay_alu instid0(VALU_DEP_2) | instskip(NEXT) | instid1(VALU_DEP_1)
	v_cmp_le_i32_e64 s2, s25, v6
	s_or_b32 s11, s2, s11
	s_delay_alu instid0(SALU_CYCLE_1)
	s_and_not1_b32 exec_lo, exec_lo, s11
	s_cbranch_execz .LBB11_152
.LBB11_156:                             ;   Parent Loop BB11_140 Depth=1
                                        ;     Parent Loop BB11_153 Depth=2
                                        ; =>    This Loop Header: Depth=3
                                        ;         Child Loop BB11_158 Depth 4
	s_and_saveexec_b32 s15, vcc_lo
	s_cbranch_execz .LBB11_155
; %bb.157:                              ;   in Loop: Header=BB11_156 Depth=3
	v_mul_lo_u32 v15, 0x108, v6
	v_dual_mov_b32 v13, v2 :: v_dual_mov_b32 v14, v5
	v_mov_b32_e32 v16, v4
	s_mov_b32 s16, 0
	s_delay_alu instid0(VALU_DEP_3)
	v_add3_u32 v15, 0x2100, s14, v15
	.p2align	6
.LBB11_158:                             ;   Parent Loop BB11_140 Depth=1
                                        ;     Parent Loop BB11_153 Depth=2
                                        ;       Parent Loop BB11_156 Depth=3
                                        ; =>      This Inner Loop Header: Depth=4
	ds_load_b64 v[17:18], v13
	ds_load_b64 v[19:20], v15
	;; [unrolled: 1-line block ×3, first 2 shown]
	v_add_nc_u32_e32 v16, 2, v16
	v_add_nc_u32_e32 v13, 16, v13
	s_delay_alu instid0(VALU_DEP_2) | instskip(NEXT) | instid1(VALU_DEP_1)
	v_cmp_le_i32_e64 s2, s25, v16
	s_or_b32 s16, s2, s16
	s_waitcnt lgkmcnt(0)
	v_fma_f64 v[17:18], -v[17:18], v[19:20], v[21:22]
	ds_store_b64 v14, v[17:18]
	v_add_nc_u32_e32 v14, 16, v14
	s_and_not1_b32 exec_lo, exec_lo, s16
	s_cbranch_execnz .LBB11_158
	s_branch .LBB11_155
.LBB11_159:                             ;   in Loop: Header=BB11_140 Depth=1
	s_waitcnt lgkmcnt(0)
	buffer_gl0_inv
	s_and_saveexec_b32 s9, s0
	s_cbranch_execz .LBB11_169
; %bb.160:                              ;   in Loop: Header=BB11_140 Depth=1
	v_dual_mov_b32 v13, v10 :: v_dual_mov_b32 v14, v9
	v_mov_b32_e32 v2, v1
	s_mov_b32 s10, 0
	s_set_inst_prefetch_distance 0x1
	s_branch .LBB11_162
	.p2align	6
.LBB11_161:                             ;   in Loop: Header=BB11_162 Depth=2
	s_or_b32 exec_lo, exec_lo, s11
	v_add_nc_u32_e32 v2, 32, v2
	v_add_nc_u32_e32 v14, s7, v14
	;; [unrolled: 1-line block ×3, first 2 shown]
	s_delay_alu instid0(VALU_DEP_3) | instskip(SKIP_1) | instid1(SALU_CYCLE_1)
	v_cmp_le_i32_e32 vcc_lo, s25, v2
	s_or_b32 s10, vcc_lo, s10
	s_and_not1_b32 exec_lo, exec_lo, s10
	s_cbranch_execz .LBB11_169
.LBB11_162:                             ;   Parent Loop BB11_140 Depth=1
                                        ; =>  This Loop Header: Depth=2
                                        ;       Child Loop BB11_165 Depth 3
	s_and_saveexec_b32 s11, s1
	s_cbranch_execz .LBB11_161
; %bb.163:                              ;   in Loop: Header=BB11_162 Depth=2
	v_dual_mov_b32 v15, v13 :: v_dual_mov_b32 v16, v7
	s_mov_b32 s14, 0
	s_branch .LBB11_165
	.p2align	6
.LBB11_164:                             ;   in Loop: Header=BB11_165 Depth=3
	s_delay_alu instid0(VALU_DEP_1) | instskip(SKIP_2) | instid1(VALU_DEP_3)
	v_ashrrev_i32_e32 v6, 31, v5
	v_add_nc_u32_e32 v16, 2, v16
	v_add_nc_u32_e32 v15, 0x210, v15
	v_lshlrev_b64 v[5:6], 3, v[5:6]
	s_delay_alu instid0(VALU_DEP_3) | instskip(SKIP_1) | instid1(VALU_DEP_2)
	v_cmp_le_i32_e32 vcc_lo, s25, v16
	s_or_b32 s14, vcc_lo, s14
	v_add_co_u32 v5, s2, s12, v5
	s_delay_alu instid0(VALU_DEP_1)
	v_add_co_ci_u32_e64 v6, s2, s13, v6, s2
	s_waitcnt lgkmcnt(0)
	global_store_b64 v[5:6], v[3:4], off
	s_and_not1_b32 exec_lo, exec_lo, s14
	s_cbranch_execz .LBB11_161
.LBB11_165:                             ;   Parent Loop BB11_140 Depth=1
                                        ;     Parent Loop BB11_162 Depth=2
                                        ; =>    This Inner Loop Header: Depth=3
	ds_load_b64 v[3:4], v15
	s_and_b32 vcc_lo, exec_lo, s4
	s_cbranch_vccz .LBB11_167
; %bb.166:                              ;   in Loop: Header=BB11_165 Depth=3
	v_add_nc_u32_e32 v17, s8, v16
	s_waitcnt lgkmcnt(0)
	s_delay_alu instid0(VALU_DEP_1)
	v_mad_u64_u32 v[5:6], null, v17, s25, v[2:3]
	s_cbranch_execnz .LBB11_164
	s_branch .LBB11_168
	.p2align	6
.LBB11_167:                             ;   in Loop: Header=BB11_165 Depth=3
                                        ; implicit-def: $vgpr5
.LBB11_168:                             ;   in Loop: Header=BB11_165 Depth=3
	v_add_nc_u32_e32 v5, v14, v16
	s_branch .LBB11_164
.LBB11_169:                             ;   in Loop: Header=BB11_140 Depth=1
	s_set_inst_prefetch_distance 0x2
	s_or_b32 exec_lo, exec_lo, s9
; %bb.170:                              ;   in Loop: Header=BB11_140 Depth=1
	v_add_nc_u32_e32 v9, s6, v9
	s_add_i32 s3, s3, 1
	s_delay_alu instid0(SALU_CYCLE_1)
	s_cmp_ge_i32 s3, s33
	s_cbranch_scc0 .LBB11_140
.LBB11_171:
	s_waitcnt vmcnt(0)
	v_and_b32_e32 v1, 0x3ff, v0
	v_bfe_u32 v0, v0, 10, 10
	s_mov_b32 s0, exec_lo
	s_delay_alu instid0(VALU_DEP_1) | instskip(NEXT) | instid1(VALU_DEP_1)
	v_or_b32_e32 v0, v1, v0
	v_cmpx_eq_u32_e32 0, v0
	s_cbranch_execz .LBB11_175
; %bb.172:
	v_dual_mov_b32 v0, 0 :: v_dual_mov_b32 v1, 1
	s_add_u32 s0, s20, s26
	s_addc_u32 s1, s21, s27
	s_and_not1_b32 vcc_lo, exec_lo, s23
	s_waitcnt_vscnt null, 0x0
	global_store_b32 v0, v1, s[0:1]
	s_cbranch_vccnz .LBB11_175
; %bb.173:
	v_mbcnt_lo_u32_b32 v0, exec_lo, 0
	s_delay_alu instid0(VALU_DEP_1)
	v_cmp_eq_u32_e32 vcc_lo, 0, v0
	s_and_b32 exec_lo, exec_lo, vcc_lo
	s_cbranch_execz .LBB11_175
; %bb.174:
	s_add_i32 s0, s22, s24
	s_delay_alu instid0(SALU_CYCLE_1)
	v_dual_mov_b32 v0, 0 :: v_dual_mov_b32 v1, s0
	global_atomic_min_i32 v0, v1, s[18:19]
.LBB11_175:
	s_nop 0
	s_sendmsg sendmsg(MSG_DEALLOC_VGPRS)
	s_endpgm
	.section	.rodata,"a",@progbits
	.p2align	6, 0x0
	.amdhsa_kernel _ZN9rocsparseL12bsrilu0_9_32ILj64ELj64ELj32EdEEv20rocsparse_direction_iPKiS3_PT2_S3_iPiS3_S6_21rocsparse_index_base_imNS_24const_host_device_scalarIfEENS8_IdEENS8_IS4_EEb
		.amdhsa_group_segment_fixed_size 16896
		.amdhsa_private_segment_fixed_size 0
		.amdhsa_kernarg_size 116
		.amdhsa_user_sgpr_count 15
		.amdhsa_user_sgpr_dispatch_ptr 0
		.amdhsa_user_sgpr_queue_ptr 0
		.amdhsa_user_sgpr_kernarg_segment_ptr 1
		.amdhsa_user_sgpr_dispatch_id 0
		.amdhsa_user_sgpr_private_segment_size 0
		.amdhsa_wavefront_size32 1
		.amdhsa_uses_dynamic_stack 0
		.amdhsa_enable_private_segment 0
		.amdhsa_system_sgpr_workgroup_id_x 1
		.amdhsa_system_sgpr_workgroup_id_y 0
		.amdhsa_system_sgpr_workgroup_id_z 0
		.amdhsa_system_sgpr_workgroup_info 0
		.amdhsa_system_vgpr_workitem_id 1
		.amdhsa_next_free_vgpr 38
		.amdhsa_next_free_sgpr 48
		.amdhsa_reserve_vcc 1
		.amdhsa_float_round_mode_32 0
		.amdhsa_float_round_mode_16_64 0
		.amdhsa_float_denorm_mode_32 3
		.amdhsa_float_denorm_mode_16_64 3
		.amdhsa_dx10_clamp 1
		.amdhsa_ieee_mode 1
		.amdhsa_fp16_overflow 0
		.amdhsa_workgroup_processor_mode 1
		.amdhsa_memory_ordered 1
		.amdhsa_forward_progress 0
		.amdhsa_shared_vgpr_count 0
		.amdhsa_exception_fp_ieee_invalid_op 0
		.amdhsa_exception_fp_denorm_src 0
		.amdhsa_exception_fp_ieee_div_zero 0
		.amdhsa_exception_fp_ieee_overflow 0
		.amdhsa_exception_fp_ieee_underflow 0
		.amdhsa_exception_fp_ieee_inexact 0
		.amdhsa_exception_int_div_zero 0
	.end_amdhsa_kernel
	.section	.text._ZN9rocsparseL12bsrilu0_9_32ILj64ELj64ELj32EdEEv20rocsparse_direction_iPKiS3_PT2_S3_iPiS3_S6_21rocsparse_index_base_imNS_24const_host_device_scalarIfEENS8_IdEENS8_IS4_EEb,"axG",@progbits,_ZN9rocsparseL12bsrilu0_9_32ILj64ELj64ELj32EdEEv20rocsparse_direction_iPKiS3_PT2_S3_iPiS3_S6_21rocsparse_index_base_imNS_24const_host_device_scalarIfEENS8_IdEENS8_IS4_EEb,comdat
.Lfunc_end11:
	.size	_ZN9rocsparseL12bsrilu0_9_32ILj64ELj64ELj32EdEEv20rocsparse_direction_iPKiS3_PT2_S3_iPiS3_S6_21rocsparse_index_base_imNS_24const_host_device_scalarIfEENS8_IdEENS8_IS4_EEb, .Lfunc_end11-_ZN9rocsparseL12bsrilu0_9_32ILj64ELj64ELj32EdEEv20rocsparse_direction_iPKiS3_PT2_S3_iPiS3_S6_21rocsparse_index_base_imNS_24const_host_device_scalarIfEENS8_IdEENS8_IS4_EEb
                                        ; -- End function
	.section	.AMDGPU.csdata,"",@progbits
; Kernel info:
; codeLenInByte = 5332
; NumSgprs: 50
; NumVgprs: 38
; ScratchSize: 0
; MemoryBound: 0
; FloatMode: 240
; IeeeMode: 1
; LDSByteSize: 16896 bytes/workgroup (compile time only)
; SGPRBlocks: 6
; VGPRBlocks: 4
; NumSGPRsForWavesPerEU: 50
; NumVGPRsForWavesPerEU: 38
; Occupancy: 4
; WaveLimiterHint : 1
; COMPUTE_PGM_RSRC2:SCRATCH_EN: 0
; COMPUTE_PGM_RSRC2:USER_SGPR: 15
; COMPUTE_PGM_RSRC2:TRAP_HANDLER: 0
; COMPUTE_PGM_RSRC2:TGID_X_EN: 1
; COMPUTE_PGM_RSRC2:TGID_Y_EN: 0
; COMPUTE_PGM_RSRC2:TGID_Z_EN: 0
; COMPUTE_PGM_RSRC2:TIDIG_COMP_CNT: 1
	.section	.text._ZN9rocsparseL13bsrilu0_33_64ILj64ELj64ELj64EdEEv20rocsparse_direction_iPKiS3_PT2_S3_iPiS3_S6_21rocsparse_index_base_imNS_24const_host_device_scalarIfEENS8_IdEENS8_IS4_EEb,"axG",@progbits,_ZN9rocsparseL13bsrilu0_33_64ILj64ELj64ELj64EdEEv20rocsparse_direction_iPKiS3_PT2_S3_iPiS3_S6_21rocsparse_index_base_imNS_24const_host_device_scalarIfEENS8_IdEENS8_IS4_EEb,comdat
	.globl	_ZN9rocsparseL13bsrilu0_33_64ILj64ELj64ELj64EdEEv20rocsparse_direction_iPKiS3_PT2_S3_iPiS3_S6_21rocsparse_index_base_imNS_24const_host_device_scalarIfEENS8_IdEENS8_IS4_EEb ; -- Begin function _ZN9rocsparseL13bsrilu0_33_64ILj64ELj64ELj64EdEEv20rocsparse_direction_iPKiS3_PT2_S3_iPiS3_S6_21rocsparse_index_base_imNS_24const_host_device_scalarIfEENS8_IdEENS8_IS4_EEb
	.p2align	8
	.type	_ZN9rocsparseL13bsrilu0_33_64ILj64ELj64ELj64EdEEv20rocsparse_direction_iPKiS3_PT2_S3_iPiS3_S6_21rocsparse_index_base_imNS_24const_host_device_scalarIfEENS8_IdEENS8_IS4_EEb,@function
_ZN9rocsparseL13bsrilu0_33_64ILj64ELj64ELj64EdEEv20rocsparse_direction_iPKiS3_PT2_S3_iPiS3_S6_21rocsparse_index_base_imNS_24const_host_device_scalarIfEENS8_IdEENS8_IS4_EEb: ; @_ZN9rocsparseL13bsrilu0_33_64ILj64ELj64ELj64EdEEv20rocsparse_direction_iPKiS3_PT2_S3_iPiS3_S6_21rocsparse_index_base_imNS_24const_host_device_scalarIfEENS8_IdEENS8_IS4_EEb
; %bb.0:
	s_clause 0x2
	s_load_b32 s3, s[0:1], 0x70
	s_load_b64 s[24:25], s[0:1], 0x48
	s_load_b256 s[16:23], s[0:1], 0x50
	s_mov_b32 s2, s15
	s_waitcnt lgkmcnt(0)
	s_bitcmp1_b32 s3, 0
	s_cselect_b32 s6, -1, 0
	s_cmp_lg_u32 s25, 0
	s_cselect_b32 s29, -1, 0
	s_cmp_eq_u32 s25, 0
	s_cselect_b32 s3, -1, 0
	s_delay_alu instid0(SALU_CYCLE_1) | instskip(SKIP_3) | instid1(SALU_CYCLE_1)
	s_and_b32 s4, s3, exec_lo
	s_cselect_b32 s4, 0, s20
	s_cselect_b32 s5, 0, s21
	s_or_b32 s6, s3, s6
	s_and_b32 vcc_lo, exec_lo, s6
	s_xor_b32 s6, s6, -1
	s_cbranch_vccnz .LBB12_2
; %bb.1:
	s_load_b32 s4, s[18:19], 0x0
	s_waitcnt lgkmcnt(0)
	v_mov_b32_e32 v20, s4
	s_mov_b64 s[4:5], s[20:21]
	s_branch .LBB12_3
.LBB12_2:
	v_cndmask_b32_e64 v20, s18, 0, s3
.LBB12_3:
	v_cndmask_b32_e64 v1, 0, 1, s6
	v_dual_mov_b32 v3, s4 :: v_dual_mov_b32 v4, s5
	s_and_not1_b32 vcc_lo, exec_lo, s6
	s_cbranch_vccnz .LBB12_5
; %bb.4:
	v_dual_mov_b32 v2, s20 :: v_dual_mov_b32 v3, s21
	flat_load_b64 v[3:4], v[2:3]
.LBB12_5:
	s_and_b32 s3, s3, exec_lo
	s_cselect_b32 s5, 0, s23
	v_cmp_ne_u32_e32 vcc_lo, 1, v1
	s_cselect_b32 s4, 0, s22
	s_mov_b32 s3, 0
	v_dual_mov_b32 v1, s4 :: v_dual_mov_b32 v2, s5
	s_cbranch_vccnz .LBB12_7
; %bb.6:
	v_dual_mov_b32 v1, s22 :: v_dual_mov_b32 v2, s23
	flat_load_b64 v[1:2], v[1:2]
.LBB12_7:
	s_clause 0x1
	s_load_b128 s[20:23], s[0:1], 0x30
	s_load_b64 s[18:19], s[0:1], 0x40
	s_lshl_b64 s[2:3], s[2:3], 2
	s_waitcnt lgkmcnt(0)
	s_add_u32 s2, s22, s2
	s_addc_u32 s3, s23, s3
	s_load_b32 s22, s[2:3], 0x0
	s_load_b256 s[8:15], s[0:1], 0x8
	s_waitcnt lgkmcnt(0)
	s_ashr_i32 s23, s22, 31
	s_delay_alu instid0(SALU_CYCLE_1) | instskip(NEXT) | instid1(SALU_CYCLE_1)
	s_lshl_b64 s[26:27], s[22:23], 2
	s_add_u32 s2, s14, s26
	s_addc_u32 s3, s15, s27
	s_load_b32 s30, s[2:3], 0x0
	s_waitcnt lgkmcnt(0)
	s_cmp_eq_u32 s30, -1
	s_cbranch_scc1 .LBB12_101
; %bb.8:
	s_add_u32 s2, s8, s26
	s_addc_u32 s3, s9, s27
	s_mov_b32 s25, 0
	s_load_b64 s[2:3], s[2:3], 0x0
	s_clause 0x1
	s_load_b64 s[34:35], s[0:1], 0x0
	s_load_b32 s28, s[0:1], 0x28
	s_waitcnt lgkmcnt(0)
	s_sub_i32 s36, s2, s24
	s_sub_i32 s23, s3, s24
	s_cmp_ge_i32 s36, s30
	s_cbranch_scc1 .LBB12_90
; %bb.9:
	v_dual_mov_b32 v28, 0 :: v_dual_and_b32 v5, 0x3ff, v0
	v_bfe_u32 v21, v0, 10, 10
	s_cmp_lg_u32 s34, 0
	s_mov_b32 s38, 0
	s_delay_alu instid0(VALU_DEP_2)
	v_lshlrev_b32_e32 v11, 3, v5
	s_cselect_b32 s31, -1, 0
	v_lshl_or_b32 v6, v21, 6, v5
	v_add_nc_u32_e32 v22, 1, v21
	s_cmp_gt_i32 s28, 0
	v_cmp_gt_i32_e64 s0, s28, v5
	s_cselect_b32 s33, -1, 0
	v_add_nc_u32_e32 v6, s36, v6
	s_add_i32 s35, s35, 1
	v_cmp_le_i32_e64 s1, s28, v5
	v_cmp_gt_i32_e64 s2, s28, v21
	v_cmp_eq_u32_e64 s3, 0, v21
	v_mad_u64_u32 v[8:9], null, s28, s36, v[5:6]
	v_ashrrev_i32_e32 v7, 31, v6
	s_add_u32 s39, s8, 4
	v_cmp_gt_i32_e64 s4, s23, v6
	v_mul_u32_u24_e32 v24, 0x208, v21
	v_mad_u32_u24 v25, 0x208, v21, v11
	v_lshlrev_b64 v[9:10], 2, v[6:7]
	v_mul_lo_u32 v23, s28, v8
	v_mad_u32_u24 v27, 0x208, v21, 0x208
	s_addc_u32 s9, s9, 0
	s_add_u32 s40, s10, 0x100
	s_addc_u32 s41, s11, 0
	v_add_co_u32 v7, vcc_lo, s10, v9
	v_add_co_ci_u32_e32 v8, vcc_lo, s11, v10, vcc_lo
	s_delay_alu instid0(VALU_DEP_4)
	v_add_nc_u32_e32 v26, v22, v23
	s_lshl_b32 s42, s28, 6
	s_mul_i32 s43, s28, s28
.LBB12_10:                              ; =>This Loop Header: Depth=1
                                        ;     Child Loop BB12_12 Depth 2
                                        ;     Child Loop BB12_16 Depth 2
                                        ;       Child Loop BB12_19 Depth 3
                                        ;     Child Loop BB12_26 Depth 2
                                        ;       Child Loop BB12_29 Depth 3
                                        ;         Child Loop BB12_40 Depth 4
                                        ;     Child Loop BB12_51 Depth 2
                                        ;       Child Loop BB12_56 Depth 3
                                        ;       Child Loop BB12_65 Depth 3
                                        ;         Child Loop BB12_68 Depth 4
                                        ;       Child Loop BB12_74 Depth 3
                                        ;         Child Loop BB12_77 Depth 4
                                        ;           Child Loop BB12_79 Depth 5
	s_ashr_i32 s37, s36, 31
	s_mov_b32 s25, -1
	s_lshl_b64 s[6:7], s[36:37], 2
	s_delay_alu instid0(SALU_CYCLE_1) | instskip(SKIP_4) | instid1(VALU_DEP_1)
	s_add_u32 s6, s10, s6
	s_addc_u32 s7, s11, s7
	global_load_b32 v9, v28, s[6:7]
	s_waitcnt vmcnt(0)
	v_readfirstlane_b32 s5, v9
	s_sub_i32 s6, s5, s24
	s_delay_alu instid0(SALU_CYCLE_1) | instskip(NEXT) | instid1(SALU_CYCLE_1)
	s_ashr_i32 s7, s6, 31
	s_lshl_b64 s[6:7], s[6:7], 2
	s_delay_alu instid0(SALU_CYCLE_1)
	s_add_u32 s44, s14, s6
	s_addc_u32 s45, s15, s7
	global_load_b32 v9, v28, s[44:45]
	s_waitcnt vmcnt(0)
	v_cmp_eq_u32_e32 vcc_lo, -1, v9
	v_readfirstlane_b32 s37, v9
	v_cmp_ne_u32_e64 s5, -1, v9
	s_cbranch_vccnz .LBB12_88
; %bb.11:                               ;   in Loop: Header=BB12_10 Depth=1
	s_add_u32 s44, s39, s6
	s_addc_u32 s45, s9, s7
	s_add_u32 s6, s20, s6
	global_load_b32 v9, v28, s[44:45]
	s_addc_u32 s7, s21, s7
	s_waitcnt vmcnt(0)
	v_readfirstlane_b32 s44, v9
.LBB12_12:                              ;   Parent Loop BB12_10 Depth=1
                                        ; =>  This Inner Loop Header: Depth=2
	global_load_b32 v9, v28, s[6:7] glc
	s_waitcnt vmcnt(0)
	v_cmp_eq_u32_e32 vcc_lo, 0, v9
	s_cbranch_vccnz .LBB12_12
; %bb.13:                               ;   in Loop: Header=BB12_10 Depth=1
	buffer_gl1_inv
	buffer_gl0_inv
	s_and_saveexec_b32 s6, s0
	s_cbranch_execz .LBB12_23
; %bb.14:                               ;   in Loop: Header=BB12_10 Depth=1
	s_mul_i32 s7, s37, s28
	v_mov_b32_e32 v13, v25
	v_add_nc_u32_e32 v9, s7, v5
	s_mov_b32 s8, 0
	s_waitcnt lgkmcnt(0)
	s_delay_alu instid0(VALU_DEP_1)
	v_mul_lo_u32 v12, s28, v9
	v_mov_b32_e32 v9, v5
	s_set_inst_prefetch_distance 0x1
	s_branch .LBB12_16
	.p2align	6
.LBB12_15:                              ;   in Loop: Header=BB12_16 Depth=2
	s_or_b32 exec_lo, exec_lo, s25
	v_add_nc_u32_e32 v9, 64, v9
	v_add_nc_u32_e32 v12, s42, v12
	;; [unrolled: 1-line block ×3, first 2 shown]
	s_delay_alu instid0(VALU_DEP_3) | instskip(SKIP_1) | instid1(SALU_CYCLE_1)
	v_cmp_le_i32_e32 vcc_lo, s28, v9
	s_or_b32 s8, vcc_lo, s8
	s_and_not1_b32 exec_lo, exec_lo, s8
	s_cbranch_execz .LBB12_23
.LBB12_16:                              ;   Parent Loop BB12_10 Depth=1
                                        ; =>  This Loop Header: Depth=2
                                        ;       Child Loop BB12_19 Depth 3
	s_and_saveexec_b32 s25, s2
	s_cbranch_execz .LBB12_15
; %bb.17:                               ;   in Loop: Header=BB12_16 Depth=2
	v_mov_b32_e32 v14, v13
	v_mov_b32_e32 v15, v21
	s_mov_b32 s45, 0
	s_branch .LBB12_19
	.p2align	6
.LBB12_18:                              ;   in Loop: Header=BB12_19 Depth=3
	s_delay_alu instid0(VALU_DEP_1) | instskip(SKIP_1) | instid1(VALU_DEP_2)
	v_ashrrev_i32_e32 v11, 31, v10
	v_add_nc_u32_e32 v15, 1, v15
	v_lshlrev_b64 v[10:11], 3, v[10:11]
	s_delay_alu instid0(VALU_DEP_1) | instskip(NEXT) | instid1(VALU_DEP_2)
	v_add_co_u32 v10, vcc_lo, s12, v10
	v_add_co_ci_u32_e32 v11, vcc_lo, s13, v11, vcc_lo
	s_delay_alu instid0(VALU_DEP_4)
	v_cmp_le_i32_e32 vcc_lo, s28, v15
	global_load_b64 v[10:11], v[10:11], off
	s_or_b32 s45, vcc_lo, s45
	s_waitcnt vmcnt(0)
	ds_store_b64 v14, v[10:11]
	v_add_nc_u32_e32 v14, 0x208, v14
	s_and_not1_b32 exec_lo, exec_lo, s45
	s_cbranch_execz .LBB12_15
.LBB12_19:                              ;   Parent Loop BB12_10 Depth=1
                                        ;     Parent Loop BB12_16 Depth=2
                                        ; =>    This Inner Loop Header: Depth=3
	s_and_b32 vcc_lo, exec_lo, s31
	s_cbranch_vccz .LBB12_21
; %bb.20:                               ;   in Loop: Header=BB12_19 Depth=3
	v_add_nc_u32_e32 v16, s7, v15
	s_delay_alu instid0(VALU_DEP_1)
	v_mad_u64_u32 v[10:11], null, v16, s28, v[9:10]
	s_cbranch_execnz .LBB12_18
	s_branch .LBB12_22
	.p2align	6
.LBB12_21:                              ;   in Loop: Header=BB12_19 Depth=3
                                        ; implicit-def: $vgpr10
.LBB12_22:                              ;   in Loop: Header=BB12_19 Depth=3
	v_add_nc_u32_e32 v10, v12, v15
	s_branch .LBB12_18
.LBB12_23:                              ;   in Loop: Header=BB12_10 Depth=1
	s_set_inst_prefetch_distance 0x2
	s_or_b32 exec_lo, exec_lo, s6
	s_delay_alu instid0(SALU_CYCLE_1)
	s_and_not1_b32 vcc_lo, exec_lo, s33
	s_mul_i32 s25, s36, s28
	s_waitcnt lgkmcnt(0)
	buffer_gl0_inv
	s_cbranch_vccnz .LBB12_46
; %bb.24:                               ;   in Loop: Header=BB12_10 Depth=1
	v_dual_mov_b32 v29, v27 :: v_dual_mov_b32 v30, v26
	s_mov_b32 s8, 0
	s_branch .LBB12_26
.LBB12_25:                              ;   in Loop: Header=BB12_26 Depth=2
	s_or_b32 exec_lo, exec_lo, s45
	v_add_nc_u32_e32 v30, 1, v30
	v_add_nc_u32_e32 v29, 0x210, v29
	s_add_i32 s8, s8, 1
	s_delay_alu instid0(SALU_CYCLE_1)
	s_cmp_eq_u32 s8, s28
	s_cbranch_scc1 .LBB12_46
.LBB12_26:                              ;   Parent Loop BB12_10 Depth=1
                                        ; =>  This Loop Header: Depth=2
                                        ;       Child Loop BB12_29 Depth 3
                                        ;         Child Loop BB12_40 Depth 4
	s_and_saveexec_b32 s45, s0
	s_cbranch_execz .LBB12_25
; %bb.27:                               ;   in Loop: Header=BB12_26 Depth=2
	s_lshl_b32 s6, s8, 3
	s_mul_i32 s7, s8, 0x208
	v_add_nc_u32_e32 v31, s8, v22
	s_add_i32 s6, s7, s6
	s_delay_alu instid0(SALU_CYCLE_1) | instskip(SKIP_1) | instid1(VALU_DEP_3)
	v_dual_mov_b32 v32, v30 :: v_dual_mov_b32 v9, s6
	v_mov_b32_e32 v11, v5
	v_cmp_gt_i32_e64 s6, s28, v31
	s_add_i32 s46, s8, s25
	s_mov_b32 s47, 0
	ds_load_b64 v[9:10], v9
	s_mul_i32 s46, s46, s28
	s_branch .LBB12_29
.LBB12_28:                              ;   in Loop: Header=BB12_29 Depth=3
	s_set_inst_prefetch_distance 0x2
	s_or_b32 exec_lo, exec_lo, s48
	v_add_nc_u32_e32 v11, 64, v11
	v_add_nc_u32_e32 v32, s42, v32
	s_delay_alu instid0(VALU_DEP_2) | instskip(SKIP_1) | instid1(SALU_CYCLE_1)
	v_cmp_le_i32_e32 vcc_lo, s28, v11
	s_or_b32 s47, vcc_lo, s47
	s_and_not1_b32 exec_lo, exec_lo, s47
	s_cbranch_execz .LBB12_25
.LBB12_29:                              ;   Parent Loop BB12_10 Depth=1
                                        ;     Parent Loop BB12_26 Depth=2
                                        ; =>    This Loop Header: Depth=3
                                        ;         Child Loop BB12_40 Depth 4
	s_and_b32 vcc_lo, exec_lo, s31
	s_cbranch_vccz .LBB12_44
; %bb.30:                               ;   in Loop: Header=BB12_29 Depth=3
	v_add_nc_u32_e32 v12, s46, v11
	s_cbranch_execnz .LBB12_32
.LBB12_31:                              ;   in Loop: Header=BB12_29 Depth=3
	v_add_nc_u32_e32 v14, s25, v11
	s_delay_alu instid0(VALU_DEP_1)
	v_mad_u64_u32 v[12:13], null, v14, s28, s[8:9]
.LBB12_32:                              ;   in Loop: Header=BB12_29 Depth=3
	s_delay_alu instid0(VALU_DEP_1) | instskip(NEXT) | instid1(VALU_DEP_1)
	v_ashrrev_i32_e32 v13, 31, v12
	v_lshlrev_b64 v[12:13], 3, v[12:13]
	s_delay_alu instid0(VALU_DEP_1) | instskip(NEXT) | instid1(VALU_DEP_2)
	v_add_co_u32 v12, vcc_lo, s12, v12
	v_add_co_ci_u32_e32 v13, vcc_lo, s13, v13, vcc_lo
	global_load_b64 v[12:13], v[12:13], off
	s_waitcnt vmcnt(0) lgkmcnt(0)
	v_div_scale_f64 v[14:15], null, v[9:10], v[9:10], v[12:13]
	s_delay_alu instid0(VALU_DEP_1) | instskip(SKIP_2) | instid1(VALU_DEP_1)
	v_rcp_f64_e32 v[16:17], v[14:15]
	s_waitcnt_depctr 0xfff
	v_fma_f64 v[18:19], -v[14:15], v[16:17], 1.0
	v_fma_f64 v[16:17], v[16:17], v[18:19], v[16:17]
	s_delay_alu instid0(VALU_DEP_1) | instskip(NEXT) | instid1(VALU_DEP_1)
	v_fma_f64 v[18:19], -v[14:15], v[16:17], 1.0
	v_fma_f64 v[16:17], v[16:17], v[18:19], v[16:17]
	v_div_scale_f64 v[18:19], vcc_lo, v[12:13], v[9:10], v[12:13]
	s_delay_alu instid0(VALU_DEP_1) | instskip(NEXT) | instid1(VALU_DEP_1)
	v_mul_f64 v[33:34], v[18:19], v[16:17]
	v_fma_f64 v[14:15], -v[14:15], v[33:34], v[18:19]
	s_delay_alu instid0(VALU_DEP_1) | instskip(NEXT) | instid1(VALU_DEP_1)
	v_div_fmas_f64 v[14:15], v[14:15], v[16:17], v[33:34]
	v_div_fixup_f64 v[12:13], v[14:15], v[9:10], v[12:13]
	s_and_saveexec_b32 s7, s3
	s_cbranch_execz .LBB12_37
; %bb.33:                               ;   in Loop: Header=BB12_29 Depth=3
	s_and_b32 vcc_lo, exec_lo, s31
	s_cbranch_vccz .LBB12_45
; %bb.34:                               ;   in Loop: Header=BB12_29 Depth=3
	v_add_nc_u32_e32 v14, s46, v11
	s_cbranch_execnz .LBB12_36
.LBB12_35:                              ;   in Loop: Header=BB12_29 Depth=3
	v_add_nc_u32_e32 v16, s25, v11
	s_delay_alu instid0(VALU_DEP_1)
	v_mad_u64_u32 v[14:15], null, v16, s28, s[8:9]
.LBB12_36:                              ;   in Loop: Header=BB12_29 Depth=3
	s_delay_alu instid0(VALU_DEP_1) | instskip(NEXT) | instid1(VALU_DEP_1)
	v_ashrrev_i32_e32 v15, 31, v14
	v_lshlrev_b64 v[14:15], 3, v[14:15]
	s_delay_alu instid0(VALU_DEP_1) | instskip(NEXT) | instid1(VALU_DEP_2)
	v_add_co_u32 v14, vcc_lo, s12, v14
	v_add_co_ci_u32_e32 v15, vcc_lo, s13, v15, vcc_lo
	global_store_b64 v[14:15], v[12:13], off
.LBB12_37:                              ;   in Loop: Header=BB12_29 Depth=3
	s_or_b32 exec_lo, exec_lo, s7
	s_and_saveexec_b32 s48, s6
	s_cbranch_execz .LBB12_28
; %bb.38:                               ;   in Loop: Header=BB12_29 Depth=3
	v_dual_mov_b32 v33, v29 :: v_dual_mov_b32 v34, v32
	v_mov_b32_e32 v35, v31
	s_mov_b32 s49, 0
	s_set_inst_prefetch_distance 0x1
	s_branch .LBB12_40
	.p2align	6
.LBB12_39:                              ;   in Loop: Header=BB12_40 Depth=4
	s_waitcnt vmcnt(0) lgkmcnt(0)
	v_fma_f64 v[14:15], -v[12:13], v[14:15], v[18:19]
	s_delay_alu instid0(VALU_DEP_2) | instskip(SKIP_3) | instid1(VALU_DEP_4)
	v_ashrrev_i32_e32 v17, 31, v16
	v_add_nc_u32_e32 v35, 1, v35
	v_add_nc_u32_e32 v34, 1, v34
	v_add_nc_u32_e32 v33, 0x208, v33
	v_lshlrev_b64 v[16:17], 3, v[16:17]
	s_delay_alu instid0(VALU_DEP_4) | instskip(SKIP_1) | instid1(VALU_DEP_2)
	v_cmp_le_i32_e32 vcc_lo, s28, v35
	s_or_b32 s49, vcc_lo, s49
	v_add_co_u32 v16, s7, s12, v16
	s_delay_alu instid0(VALU_DEP_1)
	v_add_co_ci_u32_e64 v17, s7, s13, v17, s7
	global_store_b64 v[16:17], v[14:15], off
	s_and_not1_b32 exec_lo, exec_lo, s49
	s_cbranch_execz .LBB12_28
.LBB12_40:                              ;   Parent Loop BB12_10 Depth=1
                                        ;     Parent Loop BB12_26 Depth=2
                                        ;       Parent Loop BB12_29 Depth=3
                                        ; =>      This Inner Loop Header: Depth=4
	ds_load_b64 v[14:15], v33
	v_add_nc_u32_e32 v36, s25, v35
	v_mov_b32_e32 v16, v34
	s_and_not1_b32 vcc_lo, exec_lo, s31
	s_cbranch_vccnz .LBB12_42
; %bb.41:                               ;   in Loop: Header=BB12_40 Depth=4
	s_delay_alu instid0(VALU_DEP_2)
	v_mad_u64_u32 v[16:17], null, v36, s28, v[11:12]
.LBB12_42:                              ;   in Loop: Header=BB12_40 Depth=4
	s_delay_alu instid0(VALU_DEP_1) | instskip(NEXT) | instid1(VALU_DEP_1)
	v_ashrrev_i32_e32 v17, 31, v16
	v_lshlrev_b64 v[16:17], 3, v[16:17]
	s_delay_alu instid0(VALU_DEP_1) | instskip(NEXT) | instid1(VALU_DEP_2)
	v_add_co_u32 v16, vcc_lo, s12, v16
	v_add_co_ci_u32_e32 v17, vcc_lo, s13, v17, vcc_lo
	s_and_not1_b32 vcc_lo, exec_lo, s31
	global_load_b64 v[18:19], v[16:17], off
	v_mov_b32_e32 v16, v34
	s_cbranch_vccnz .LBB12_39
; %bb.43:                               ;   in Loop: Header=BB12_40 Depth=4
	v_mad_u64_u32 v[16:17], null, v36, s28, v[11:12]
	s_branch .LBB12_39
.LBB12_44:                              ;   in Loop: Header=BB12_29 Depth=3
                                        ; implicit-def: $vgpr12
	s_branch .LBB12_31
.LBB12_45:                              ;   in Loop: Header=BB12_29 Depth=3
                                        ; implicit-def: $vgpr14
	s_branch .LBB12_35
.LBB12_46:                              ;   in Loop: Header=BB12_10 Depth=1
	s_sub_i32 s8, s44, s24
	s_add_i32 s6, s37, 1
	s_waitcnt_vscnt null, 0x0
	buffer_gl0_inv
	s_cmp_ge_i32 s6, s8
	s_cbranch_scc1 .LBB12_87
; %bb.47:                               ;   in Loop: Header=BB12_10 Depth=1
	v_mad_u64_u32 v[9:10], null, s28, s6, v[5:6]
	s_delay_alu instid0(VALU_DEP_1)
	v_mul_lo_u32 v14, s28, v9
	s_branch .LBB12_51
.LBB12_48:                              ;   in Loop: Header=BB12_51 Depth=2
	s_or_b32 exec_lo, exec_lo, s37
.LBB12_49:                              ;   in Loop: Header=BB12_51 Depth=2
	s_delay_alu instid0(SALU_CYCLE_1)
	s_or_b32 exec_lo, exec_lo, s7
.LBB12_50:                              ;   in Loop: Header=BB12_51 Depth=2
	v_add_nc_u32_e32 v14, s43, v14
	s_add_i32 s6, s6, 1
	s_delay_alu instid0(SALU_CYCLE_1)
	s_cmp_lt_i32 s6, s8
	s_cbranch_scc0 .LBB12_87
.LBB12_51:                              ;   Parent Loop BB12_10 Depth=1
                                        ; =>  This Loop Header: Depth=2
                                        ;       Child Loop BB12_56 Depth 3
                                        ;       Child Loop BB12_65 Depth 3
                                        ;         Child Loop BB12_68 Depth 4
                                        ;       Child Loop BB12_74 Depth 3
                                        ;         Child Loop BB12_77 Depth 4
                                        ;           Child Loop BB12_79 Depth 5
	s_ashr_i32 s7, s6, 31
	v_mov_b32_e32 v10, s35
	s_lshl_b64 s[44:45], s[6:7], 2
	s_delay_alu instid0(SALU_CYCLE_1)
	s_add_u32 s44, s10, s44
	s_addc_u32 s45, s11, s45
	global_load_b32 v9, v28, s[44:45]
	s_and_saveexec_b32 s7, s4
	s_cbranch_execz .LBB12_53
; %bb.52:                               ;   in Loop: Header=BB12_51 Depth=2
	global_load_b32 v10, v[7:8], off
	s_waitcnt vmcnt(0)
	v_subrev_nc_u32_e32 v10, s24, v10
.LBB12_53:                              ;   in Loop: Header=BB12_51 Depth=2
	s_or_b32 exec_lo, exec_lo, s7
	s_waitcnt vmcnt(0)
	v_subrev_nc_u32_e32 v11, s24, v9
	s_waitcnt lgkmcnt(0)
	v_mov_b32_e32 v12, v6
	s_mov_b32 s7, exec_lo
	s_delay_alu instid0(VALU_DEP_2)
	v_cmpx_lt_i32_e64 v10, v11
	s_cbranch_execz .LBB12_59
; %bb.54:                               ;   in Loop: Header=BB12_51 Depth=2
	v_mov_b32_e32 v9, v6
	s_mov_b32 s37, 0
	s_branch .LBB12_56
	.p2align	6
.LBB12_55:                              ;   in Loop: Header=BB12_56 Depth=3
	s_or_b32 exec_lo, exec_lo, s44
	s_delay_alu instid0(VALU_DEP_1) | instskip(SKIP_2) | instid1(SALU_CYCLE_1)
	v_cmp_ge_i32_e32 vcc_lo, v10, v11
	v_mov_b32_e32 v9, v12
	s_or_b32 s37, vcc_lo, s37
	s_and_not1_b32 exec_lo, exec_lo, s37
	s_cbranch_execz .LBB12_58
.LBB12_56:                              ;   Parent Loop BB12_10 Depth=1
                                        ;     Parent Loop BB12_51 Depth=2
                                        ; =>    This Inner Loop Header: Depth=3
	s_delay_alu instid0(VALU_DEP_1) | instskip(SKIP_2) | instid1(VALU_DEP_2)
	v_add_nc_u32_e32 v12, 64, v9
	v_mov_b32_e32 v10, s35
	s_mov_b32 s44, exec_lo
	v_cmpx_gt_i32_e64 s23, v12
	s_cbranch_execz .LBB12_55
; %bb.57:                               ;   in Loop: Header=BB12_56 Depth=3
	v_ashrrev_i32_e32 v10, 31, v9
	s_delay_alu instid0(VALU_DEP_1) | instskip(NEXT) | instid1(VALU_DEP_1)
	v_lshlrev_b64 v[9:10], 2, v[9:10]
	v_add_co_u32 v9, vcc_lo, s40, v9
	s_delay_alu instid0(VALU_DEP_2)
	v_add_co_ci_u32_e32 v10, vcc_lo, s41, v10, vcc_lo
	global_load_b32 v9, v[9:10], off
	s_waitcnt vmcnt(0)
	v_subrev_nc_u32_e32 v10, s24, v9
	s_branch .LBB12_55
.LBB12_58:                              ;   in Loop: Header=BB12_51 Depth=2
	s_or_b32 exec_lo, exec_lo, s37
.LBB12_59:                              ;   in Loop: Header=BB12_51 Depth=2
	s_delay_alu instid0(SALU_CYCLE_1)
	s_or_b32 exec_lo, exec_lo, s7
	v_cmp_eq_u32_e32 vcc_lo, v10, v11
	s_cbranch_vccz .LBB12_50
; %bb.60:                               ;   in Loop: Header=BB12_51 Depth=2
	s_ctz_i32_b32 s7, vcc_lo
	s_delay_alu instid0(SALU_CYCLE_1) | instskip(NEXT) | instid1(SALU_CYCLE_1)
	s_lshl_b32 s7, s7, 2
	v_mov_b32_e32 v9, s7
	ds_bpermute_b32 v12, v9, v12
	s_and_saveexec_b32 s7, s1
	s_delay_alu instid0(SALU_CYCLE_1)
	s_xor_b32 s7, exec_lo, s7
	s_cbranch_execz .LBB12_62
; %bb.61:                               ;   in Loop: Header=BB12_51 Depth=2
	s_waitcnt lgkmcnt(0)
	buffer_gl0_inv
                                        ; implicit-def: $vgpr12
.LBB12_62:                              ;   in Loop: Header=BB12_51 Depth=2
	s_and_not1_saveexec_b32 s7, s7
	s_cbranch_execz .LBB12_49
; %bb.63:                               ;   in Loop: Header=BB12_51 Depth=2
	v_mov_b32_e32 v13, v25
	v_mov_b32_e32 v15, v14
	;; [unrolled: 1-line block ×3, first 2 shown]
	s_mul_i32 s44, s6, s28
	s_mov_b32 s37, 0
	s_set_inst_prefetch_distance 0x1
	s_branch .LBB12_65
	.p2align	6
.LBB12_64:                              ;   in Loop: Header=BB12_65 Depth=3
	s_or_b32 exec_lo, exec_lo, s45
	v_add_nc_u32_e32 v9, 64, v9
	v_add_nc_u32_e32 v15, s42, v15
	;; [unrolled: 1-line block ×3, first 2 shown]
	s_delay_alu instid0(VALU_DEP_3) | instskip(SKIP_1) | instid1(SALU_CYCLE_1)
	v_cmp_le_i32_e32 vcc_lo, s28, v9
	s_or_b32 s37, vcc_lo, s37
	s_and_not1_b32 exec_lo, exec_lo, s37
	s_cbranch_execz .LBB12_72
.LBB12_65:                              ;   Parent Loop BB12_10 Depth=1
                                        ;     Parent Loop BB12_51 Depth=2
                                        ; =>    This Loop Header: Depth=3
                                        ;         Child Loop BB12_68 Depth 4
	s_and_saveexec_b32 s45, s2
	s_cbranch_execz .LBB12_64
; %bb.66:                               ;   in Loop: Header=BB12_65 Depth=3
	v_mov_b32_e32 v16, v13
	v_mov_b32_e32 v17, v21
	s_mov_b32 s46, 0
	s_branch .LBB12_68
	.p2align	6
.LBB12_67:                              ;   in Loop: Header=BB12_68 Depth=4
	s_delay_alu instid0(VALU_DEP_1) | instskip(SKIP_1) | instid1(VALU_DEP_2)
	v_ashrrev_i32_e32 v11, 31, v10
	v_add_nc_u32_e32 v17, 1, v17
	v_lshlrev_b64 v[10:11], 3, v[10:11]
	s_delay_alu instid0(VALU_DEP_1) | instskip(NEXT) | instid1(VALU_DEP_2)
	v_add_co_u32 v10, vcc_lo, s12, v10
	v_add_co_ci_u32_e32 v11, vcc_lo, s13, v11, vcc_lo
	s_delay_alu instid0(VALU_DEP_4)
	v_cmp_le_i32_e32 vcc_lo, s28, v17
	global_load_b64 v[10:11], v[10:11], off
	s_or_b32 s46, vcc_lo, s46
	s_waitcnt vmcnt(0)
	ds_store_b64 v16, v[10:11]
	v_add_nc_u32_e32 v16, 0x208, v16
	s_and_not1_b32 exec_lo, exec_lo, s46
	s_cbranch_execz .LBB12_64
.LBB12_68:                              ;   Parent Loop BB12_10 Depth=1
                                        ;     Parent Loop BB12_51 Depth=2
                                        ;       Parent Loop BB12_65 Depth=3
                                        ; =>      This Inner Loop Header: Depth=4
	s_and_b32 vcc_lo, exec_lo, s31
	s_cbranch_vccz .LBB12_70
; %bb.69:                               ;   in Loop: Header=BB12_68 Depth=4
	v_add_nc_u32_e32 v18, s44, v17
	s_delay_alu instid0(VALU_DEP_1)
	v_mad_u64_u32 v[10:11], null, v18, s28, v[9:10]
	s_cbranch_execnz .LBB12_67
	s_branch .LBB12_71
	.p2align	6
.LBB12_70:                              ;   in Loop: Header=BB12_68 Depth=4
                                        ; implicit-def: $vgpr10
.LBB12_71:                              ;   in Loop: Header=BB12_68 Depth=4
	v_add_nc_u32_e32 v10, v15, v17
	s_branch .LBB12_67
.LBB12_72:                              ;   in Loop: Header=BB12_51 Depth=2
	s_set_inst_prefetch_distance 0x2
	s_or_b32 exec_lo, exec_lo, s37
	s_waitcnt lgkmcnt(0)
	v_mul_lo_u32 v15, v12, s28
	v_dual_mov_b32 v16, v23 :: v_dual_mov_b32 v9, v5
	s_mov_b32 s37, 0
	buffer_gl0_inv
	s_branch .LBB12_74
.LBB12_73:                              ;   in Loop: Header=BB12_74 Depth=3
	s_or_b32 exec_lo, exec_lo, s44
	v_add_nc_u32_e32 v9, 64, v9
	v_add_nc_u32_e32 v16, s42, v16
	s_delay_alu instid0(VALU_DEP_2) | instskip(SKIP_1) | instid1(SALU_CYCLE_1)
	v_cmp_le_i32_e32 vcc_lo, s28, v9
	s_or_b32 s37, vcc_lo, s37
	s_and_not1_b32 exec_lo, exec_lo, s37
	s_cbranch_execz .LBB12_48
.LBB12_74:                              ;   Parent Loop BB12_10 Depth=1
                                        ;     Parent Loop BB12_51 Depth=2
                                        ; =>    This Loop Header: Depth=3
                                        ;         Child Loop BB12_77 Depth 4
                                        ;           Child Loop BB12_79 Depth 5
	s_and_saveexec_b32 s44, s2
	s_cbranch_execz .LBB12_73
; %bb.75:                               ;   in Loop: Header=BB12_74 Depth=3
	v_add_nc_u32_e32 v10, v9, v15
	v_dual_mov_b32 v18, v24 :: v_dual_mov_b32 v19, v21
	s_mov_b32 s45, 0
	s_delay_alu instid0(VALU_DEP_2)
	v_mul_lo_u32 v17, v10, s28
	s_branch .LBB12_77
.LBB12_76:                              ;   in Loop: Header=BB12_77 Depth=4
	s_delay_alu instid0(VALU_DEP_1) | instskip(SKIP_2) | instid1(VALU_DEP_3)
	v_ashrrev_i32_e32 v13, 31, v12
	v_add_nc_u32_e32 v19, 1, v19
	v_add_nc_u32_e32 v18, 0x208, v18
	v_lshlrev_b64 v[12:13], 3, v[12:13]
	s_delay_alu instid0(VALU_DEP_1) | instskip(NEXT) | instid1(VALU_DEP_2)
	v_add_co_u32 v12, vcc_lo, s12, v12
	v_add_co_ci_u32_e32 v13, vcc_lo, s13, v13, vcc_lo
	v_cmp_le_i32_e32 vcc_lo, s28, v19
	global_load_b64 v[29:30], v[12:13], off
	s_or_b32 s45, vcc_lo, s45
	s_waitcnt vmcnt(0)
	v_add_f64 v[10:11], v[29:30], -v[10:11]
	global_store_b64 v[12:13], v[10:11], off
	s_and_not1_b32 exec_lo, exec_lo, s45
	s_cbranch_execz .LBB12_73
.LBB12_77:                              ;   Parent Loop BB12_10 Depth=1
                                        ;     Parent Loop BB12_51 Depth=2
                                        ;       Parent Loop BB12_74 Depth=3
                                        ; =>      This Loop Header: Depth=4
                                        ;           Child Loop BB12_79 Depth 5
	s_delay_alu instid0(VALU_DEP_2)
	v_dual_mov_b32 v10, 0 :: v_dual_mov_b32 v29, v18
	v_mov_b32_e32 v11, 0
	s_mov_b32 s46, 0
	s_set_inst_prefetch_distance 0x1
	s_branch .LBB12_79
	.p2align	6
.LBB12_78:                              ;   in Loop: Header=BB12_79 Depth=5
	s_delay_alu instid0(VALU_DEP_1) | instskip(SKIP_3) | instid1(SALU_CYCLE_1)
	v_ashrrev_i32_e32 v13, 31, v12
	ds_load_b64 v[30:31], v29
	v_add_nc_u32_e32 v29, 8, v29
	s_add_i32 s46, s46, 1
	s_cmp_eq_u32 s28, s46
	v_lshlrev_b64 v[12:13], 3, v[12:13]
	s_delay_alu instid0(VALU_DEP_1) | instskip(NEXT) | instid1(VALU_DEP_2)
	v_add_co_u32 v12, vcc_lo, s12, v12
	v_add_co_ci_u32_e32 v13, vcc_lo, s13, v13, vcc_lo
	global_load_b64 v[12:13], v[12:13], off
	s_waitcnt vmcnt(0) lgkmcnt(0)
	v_fma_f64 v[10:11], v[12:13], v[30:31], v[10:11]
	s_cbranch_scc1 .LBB12_83
.LBB12_79:                              ;   Parent Loop BB12_10 Depth=1
                                        ;     Parent Loop BB12_51 Depth=2
                                        ;       Parent Loop BB12_74 Depth=3
                                        ;         Parent Loop BB12_77 Depth=4
                                        ; =>        This Inner Loop Header: Depth=5
	s_and_b32 vcc_lo, exec_lo, s31
	s_cbranch_vccz .LBB12_81
; %bb.80:                               ;   in Loop: Header=BB12_79 Depth=5
	s_add_i32 s47, s46, s25
	s_delay_alu instid0(VALU_DEP_1) | instid1(SALU_CYCLE_1)
	v_mad_u64_u32 v[12:13], null, s47, s28, v[9:10]
	s_cbranch_execnz .LBB12_78
	s_branch .LBB12_82
	.p2align	6
.LBB12_81:                              ;   in Loop: Header=BB12_79 Depth=5
                                        ; implicit-def: $vgpr12
.LBB12_82:                              ;   in Loop: Header=BB12_79 Depth=5
	v_add_nc_u32_e32 v12, s46, v16
	s_branch .LBB12_78
.LBB12_83:                              ;   in Loop: Header=BB12_77 Depth=4
	s_set_inst_prefetch_distance 0x2
	s_and_b32 vcc_lo, exec_lo, s31
	s_cbranch_vccz .LBB12_85
; %bb.84:                               ;   in Loop: Header=BB12_77 Depth=4
	v_add_nc_u32_e32 v29, v19, v15
	s_delay_alu instid0(VALU_DEP_1)
	v_mad_u64_u32 v[12:13], null, v29, s28, v[9:10]
	s_cbranch_execnz .LBB12_76
	s_branch .LBB12_86
.LBB12_85:                              ;   in Loop: Header=BB12_77 Depth=4
                                        ; implicit-def: $vgpr12
.LBB12_86:                              ;   in Loop: Header=BB12_77 Depth=4
	v_add_nc_u32_e32 v12, v19, v17
	s_branch .LBB12_76
.LBB12_87:                              ;   in Loop: Header=BB12_10 Depth=1
	s_mov_b32 s25, s38
.LBB12_88:                              ;   in Loop: Header=BB12_10 Depth=1
	s_add_i32 s36, s36, 1
	v_add_nc_u32_e32 v26, s43, v26
	s_cmp_lt_i32 s36, s30
	v_add_nc_u32_e32 v23, s43, v23
	s_cselect_b32 s6, -1, 0
	s_delay_alu instid0(SALU_CYCLE_1) | instskip(NEXT) | instid1(SALU_CYCLE_1)
	s_and_b32 s5, s5, s6
	s_and_b32 vcc_lo, exec_lo, s5
	s_cbranch_vccz .LBB12_90
; %bb.89:                               ;   in Loop: Header=BB12_10 Depth=1
	s_mov_b32 s38, s25
	s_branch .LBB12_10
.LBB12_90:
	s_ashr_i32 s31, s30, 31
	v_mov_b32_e32 v5, 0
	s_lshl_b64 s[0:1], s[30:31], 2
	s_waitcnt vmcnt(0) lgkmcnt(0)
	s_waitcnt_vscnt null, 0x0
	buffer_gl0_inv
	s_add_u32 s0, s10, s0
	s_addc_u32 s1, s11, s1
	global_load_b32 v5, v5, s[0:1]
	s_waitcnt vmcnt(0)
	v_subrev_nc_u32_e32 v5, s24, v5
	s_delay_alu instid0(VALU_DEP_1)
	v_cmp_ne_u32_e32 vcc_lo, s22, v5
	s_cbranch_vccnz .LBB12_135
; %bb.91:
	v_and_b32_e32 v5, 0x3ff, v0
	s_delay_alu instid0(VALU_DEP_1) | instskip(SKIP_1) | instid1(VALU_DEP_2)
	v_cmp_gt_i32_e64 s0, s28, v5
	v_lshlrev_b32_e32 v12, 3, v5
	s_and_saveexec_b32 s2, s0
	s_cbranch_execz .LBB12_102
; %bb.92:
	s_mul_i32 s3, s30, s28
	v_bfe_u32 v9, v0, 10, 10
	v_add_nc_u32_e32 v6, s3, v5
	v_lshlrev_b32_e32 v7, 3, v5
	s_cmp_lg_u32 s34, 0
	s_mov_b32 s4, 0
	v_cmp_gt_u32_e64 s1, s28, v9
	v_mul_lo_u32 v10, s28, v6
	v_mov_b32_e32 v6, v5
	v_mad_u32_u24 v11, 0x208, v9, v7
	s_cselect_b32 s5, -1, 0
	s_lshl_b32 s6, s28, 6
	s_set_inst_prefetch_distance 0x1
	s_branch .LBB12_94
	.p2align	6
.LBB12_93:                              ;   in Loop: Header=BB12_94 Depth=1
	s_or_b32 exec_lo, exec_lo, s7
	v_add_nc_u32_e32 v6, 64, v6
	v_add_nc_u32_e32 v10, s6, v10
	;; [unrolled: 1-line block ×3, first 2 shown]
	s_delay_alu instid0(VALU_DEP_3) | instskip(SKIP_1) | instid1(SALU_CYCLE_1)
	v_cmp_le_i32_e32 vcc_lo, s28, v6
	s_or_b32 s4, vcc_lo, s4
	s_and_not1_b32 exec_lo, exec_lo, s4
	s_cbranch_execz .LBB12_102
.LBB12_94:                              ; =>This Loop Header: Depth=1
                                        ;     Child Loop BB12_97 Depth 2
	s_and_saveexec_b32 s7, s1
	s_cbranch_execz .LBB12_93
; %bb.95:                               ;   in Loop: Header=BB12_94 Depth=1
	v_dual_mov_b32 v13, v11 :: v_dual_mov_b32 v14, v9
	s_mov_b32 s8, 0
	s_branch .LBB12_97
	.p2align	6
.LBB12_96:                              ;   in Loop: Header=BB12_97 Depth=2
	s_delay_alu instid0(VALU_DEP_1) | instskip(SKIP_1) | instid1(VALU_DEP_2)
	v_ashrrev_i32_e32 v8, 31, v7
	v_add_nc_u32_e32 v14, 1, v14
	v_lshlrev_b64 v[7:8], 3, v[7:8]
	s_delay_alu instid0(VALU_DEP_1) | instskip(NEXT) | instid1(VALU_DEP_2)
	v_add_co_u32 v7, vcc_lo, s12, v7
	v_add_co_ci_u32_e32 v8, vcc_lo, s13, v8, vcc_lo
	s_delay_alu instid0(VALU_DEP_4)
	v_cmp_le_i32_e32 vcc_lo, s28, v14
	global_load_b64 v[7:8], v[7:8], off
	s_or_b32 s8, vcc_lo, s8
	s_waitcnt vmcnt(0)
	ds_store_b64 v13, v[7:8]
	v_add_nc_u32_e32 v13, 0x208, v13
	s_and_not1_b32 exec_lo, exec_lo, s8
	s_cbranch_execz .LBB12_93
.LBB12_97:                              ;   Parent Loop BB12_94 Depth=1
                                        ; =>  This Inner Loop Header: Depth=2
	s_and_b32 vcc_lo, exec_lo, s5
	s_cbranch_vccz .LBB12_99
; %bb.98:                               ;   in Loop: Header=BB12_97 Depth=2
	v_add_nc_u32_e32 v15, s3, v14
	s_delay_alu instid0(VALU_DEP_1)
	v_mad_u64_u32 v[7:8], null, v15, s28, v[6:7]
	s_cbranch_execnz .LBB12_96
	s_branch .LBB12_100
	.p2align	6
.LBB12_99:                              ;   in Loop: Header=BB12_97 Depth=2
                                        ; implicit-def: $vgpr7
.LBB12_100:                             ;   in Loop: Header=BB12_97 Depth=2
	v_add_nc_u32_e32 v7, v10, v14
	s_branch .LBB12_96
.LBB12_101:
	s_mov_b32 s25, -1
	s_branch .LBB12_170
.LBB12_102:
	s_set_inst_prefetch_distance 0x2
	s_or_b32 exec_lo, exec_lo, s2
	s_cmp_lt_i32 s28, 1
	s_waitcnt lgkmcnt(0)
	buffer_gl0_inv
	s_cbranch_scc1 .LBB12_124
; %bb.103:
	v_cvt_f64_f32_e32 v[7:8], v20
	v_bfe_u32 v13, v0, 10, 10
	s_cmp_eq_u64 s[16:17], 8
	s_mov_b32 s4, 0
	s_cselect_b32 vcc_lo, -1, 0
	s_delay_alu instid0(VALU_DEP_1) | instskip(SKIP_2) | instid1(VALU_DEP_3)
	v_or_b32_e32 v9, v5, v13
	v_cmp_eq_u32_e64 s1, 0, v13
	v_mad_u32_u24 v6, 0x208, v13, 0x208
	v_cmp_eq_u32_e64 s2, 0, v9
	v_dual_cndmask_b32 v4, v8, v4 :: v_dual_cndmask_b32 v3, v7, v3
.LBB12_104:                             ; =>This Loop Header: Depth=1
                                        ;     Child Loop BB12_116 Depth 2
                                        ;       Child Loop BB12_120 Depth 3
	s_lshl_b32 s3, s4, 3
	s_mul_i32 s5, s4, 0x208
	s_and_not1_b32 vcc_lo, exec_lo, s29
	s_add_i32 s3, s5, s3
	s_delay_alu instid0(SALU_CYCLE_1)
	v_mov_b32_e32 v7, s3
	s_waitcnt lgkmcnt(0)
	ds_load_b64 v[9:10], v7
	s_cbranch_vccnz .LBB12_108
; %bb.105:                              ;   in Loop: Header=BB12_104 Depth=1
	s_waitcnt lgkmcnt(0)
	v_cmp_gt_f64_e32 vcc_lo, 0, v[9:10]
	v_xor_b32_e32 v7, 0x80000000, v10
	buffer_gl0_inv
	v_dual_cndmask_b32 v8, v10, v7 :: v_dual_cndmask_b32 v7, v9, v9
	s_delay_alu instid0(VALU_DEP_1)
	v_cmp_le_f64_e32 vcc_lo, v[7:8], v[3:4]
	v_dual_cndmask_b32 v8, v10, v2 :: v_dual_cndmask_b32 v7, v9, v1
	s_and_saveexec_b32 s6, s2
	s_cbranch_execz .LBB12_107
; %bb.106:                              ;   in Loop: Header=BB12_104 Depth=1
	v_mov_b32_e32 v11, s3
	ds_store_b64 v11, v[7:8]
.LBB12_107:                             ;   in Loop: Header=BB12_104 Depth=1
	s_or_b32 exec_lo, exec_lo, s6
	s_mov_b32 s3, -1
	s_mov_b32 s7, 0
	s_cbranch_execz .LBB12_109
	s_branch .LBB12_110
.LBB12_108:                             ;   in Loop: Header=BB12_104 Depth=1
	s_mov_b32 s3, 0
                                        ; implicit-def: $vgpr7_vgpr8
	s_mov_b32 s7, 0
.LBB12_109:                             ;   in Loop: Header=BB12_104 Depth=1
	s_waitcnt lgkmcnt(0)
	v_cmp_neq_f64_e64 s3, 0, v[9:10]
	v_dual_mov_b32 v7, v9 :: v_dual_mov_b32 v8, v10
	s_mov_b32 s7, -1
.LBB12_110:                             ;   in Loop: Header=BB12_104 Depth=1
	s_delay_alu instid0(VALU_DEP_2)
	s_and_not1_b32 vcc_lo, exec_lo, s3
                                        ; implicit-def: $sgpr6
	s_cbranch_vccz .LBB12_113
; %bb.111:                              ;   in Loop: Header=BB12_104 Depth=1
	s_and_not1_b32 vcc_lo, exec_lo, s7
	s_cbranch_vccz .LBB12_122
.LBB12_112:                             ;   in Loop: Header=BB12_104 Depth=1
	s_cmp_eq_u32 s6, s28
	s_cbranch_scc0 .LBB12_123
	s_branch .LBB12_124
.LBB12_113:                             ;   in Loop: Header=BB12_104 Depth=1
	s_add_i32 s6, s4, 1
	s_mov_b32 s7, exec_lo
	v_add_nc_u32_e32 v14, s6, v5
	s_delay_alu instid0(VALU_DEP_1)
	v_cmpx_gt_i32_e64 s28, v14
	s_cbranch_execz .LBB12_121
; %bb.114:                              ;   in Loop: Header=BB12_104 Depth=1
	v_dual_mov_b32 v16, v12 :: v_dual_add_nc_u32 v15, s6, v13
	s_waitcnt lgkmcnt(0)
	v_mad_u64_u32 v[9:10], null, 0x210, s4, v[6:7]
	s_mov_b32 s8, 0
	s_delay_alu instid0(VALU_DEP_2)
	v_cmp_gt_i32_e64 s3, s28, v15
	s_branch .LBB12_116
.LBB12_115:                             ;   in Loop: Header=BB12_116 Depth=2
	s_or_b32 exec_lo, exec_lo, s9
	v_add_nc_u32_e32 v14, 64, v14
	v_add_nc_u32_e32 v16, 0x200, v16
	s_delay_alu instid0(VALU_DEP_2) | instskip(SKIP_1) | instid1(SALU_CYCLE_1)
	v_cmp_le_i32_e32 vcc_lo, s28, v14
	s_or_b32 s8, vcc_lo, s8
	s_and_not1_b32 exec_lo, exec_lo, s8
	s_cbranch_execz .LBB12_121
.LBB12_116:                             ;   Parent Loop BB12_104 Depth=1
                                        ; =>  This Loop Header: Depth=2
                                        ;       Child Loop BB12_120 Depth 3
	v_lshl_add_u32 v17, v14, 3, s5
	ds_load_b64 v[10:11], v17
	s_waitcnt lgkmcnt(0)
	buffer_gl0_inv
	v_div_scale_f64 v[18:19], null, v[7:8], v[7:8], v[10:11]
	s_delay_alu instid0(VALU_DEP_1) | instskip(SKIP_2) | instid1(VALU_DEP_1)
	v_rcp_f64_e32 v[20:21], v[18:19]
	s_waitcnt_depctr 0xfff
	v_fma_f64 v[22:23], -v[18:19], v[20:21], 1.0
	v_fma_f64 v[20:21], v[20:21], v[22:23], v[20:21]
	s_delay_alu instid0(VALU_DEP_1) | instskip(NEXT) | instid1(VALU_DEP_1)
	v_fma_f64 v[22:23], -v[18:19], v[20:21], 1.0
	v_fma_f64 v[20:21], v[20:21], v[22:23], v[20:21]
	v_div_scale_f64 v[22:23], vcc_lo, v[10:11], v[7:8], v[10:11]
	s_delay_alu instid0(VALU_DEP_1) | instskip(NEXT) | instid1(VALU_DEP_1)
	v_mul_f64 v[24:25], v[22:23], v[20:21]
	v_fma_f64 v[18:19], -v[18:19], v[24:25], v[22:23]
	s_delay_alu instid0(VALU_DEP_1) | instskip(NEXT) | instid1(VALU_DEP_1)
	v_div_fmas_f64 v[18:19], v[18:19], v[20:21], v[24:25]
	v_div_fixup_f64 v[10:11], v[18:19], v[7:8], v[10:11]
	s_and_saveexec_b32 s9, s1
	s_cbranch_execz .LBB12_118
; %bb.117:                              ;   in Loop: Header=BB12_116 Depth=2
	ds_store_b64 v17, v[10:11]
.LBB12_118:                             ;   in Loop: Header=BB12_116 Depth=2
	s_or_b32 exec_lo, exec_lo, s9
	s_and_saveexec_b32 s9, s3
	s_cbranch_execz .LBB12_115
; %bb.119:                              ;   in Loop: Header=BB12_116 Depth=2
	v_dual_mov_b32 v17, v9 :: v_dual_mov_b32 v18, v15
	s_mov_b32 s10, 0
	.p2align	6
.LBB12_120:                             ;   Parent Loop BB12_104 Depth=1
                                        ;     Parent Loop BB12_116 Depth=2
                                        ; =>    This Inner Loop Header: Depth=3
	s_delay_alu instid0(VALU_DEP_1) | instskip(NEXT) | instid1(VALU_DEP_2)
	v_add_nc_u32_e32 v23, v17, v16
	v_add_nc_u32_e32 v18, 1, v18
	ds_load_b64 v[19:20], v17
	ds_load_b64 v[21:22], v23 offset:8
	v_add_nc_u32_e32 v17, 0x208, v17
	v_cmp_le_i32_e32 vcc_lo, s28, v18
	s_or_b32 s10, vcc_lo, s10
	s_waitcnt lgkmcnt(0)
	v_fma_f64 v[19:20], -v[10:11], v[19:20], v[21:22]
	ds_store_b64 v23, v[19:20] offset:8
	s_and_not1_b32 exec_lo, exec_lo, s10
	s_cbranch_execnz .LBB12_120
	s_branch .LBB12_115
.LBB12_121:                             ;   in Loop: Header=BB12_104 Depth=1
	s_or_b32 exec_lo, exec_lo, s7
	s_cbranch_execnz .LBB12_112
.LBB12_122:                             ;   in Loop: Header=BB12_104 Depth=1
	s_add_i32 s6, s4, 1
	s_mov_b32 s25, -1
	s_cmp_eq_u32 s6, s28
	s_cbranch_scc1 .LBB12_124
.LBB12_123:                             ;   in Loop: Header=BB12_104 Depth=1
	s_mov_b32 s4, s6
	s_branch .LBB12_104
.LBB12_124:
	s_waitcnt lgkmcnt(0)
	buffer_gl0_inv
	s_and_saveexec_b32 s2, s0
	s_cbranch_execz .LBB12_134
; %bb.125:
	s_mul_i32 s3, s30, s28
	v_bfe_u32 v6, v0, 10, 10
	v_add_nc_u32_e32 v1, s3, v5
	s_cmp_lg_u32 s34, 0
	s_mov_b32 s4, 0
	s_cselect_b32 s5, -1, 0
	v_cmp_gt_u32_e64 s0, s28, v6
	v_mul_lo_u32 v7, s28, v1
	v_mad_u32_u24 v8, 0x208, v6, v12
	s_lshl_b32 s6, s28, 6
	s_set_inst_prefetch_distance 0x1
	s_branch .LBB12_127
	.p2align	6
.LBB12_126:                             ;   in Loop: Header=BB12_127 Depth=1
	s_or_b32 exec_lo, exec_lo, s7
	v_add_nc_u32_e32 v5, 64, v5
	v_add_nc_u32_e32 v7, s6, v7
	;; [unrolled: 1-line block ×3, first 2 shown]
	s_delay_alu instid0(VALU_DEP_3) | instskip(SKIP_1) | instid1(SALU_CYCLE_1)
	v_cmp_le_i32_e32 vcc_lo, s28, v5
	s_or_b32 s4, vcc_lo, s4
	s_and_not1_b32 exec_lo, exec_lo, s4
	s_cbranch_execz .LBB12_134
.LBB12_127:                             ; =>This Loop Header: Depth=1
                                        ;     Child Loop BB12_130 Depth 2
	s_and_saveexec_b32 s7, s0
	s_cbranch_execz .LBB12_126
; %bb.128:                              ;   in Loop: Header=BB12_127 Depth=1
	v_dual_mov_b32 v9, v8 :: v_dual_mov_b32 v10, v6
	s_mov_b32 s8, 0
	s_branch .LBB12_130
	.p2align	6
.LBB12_129:                             ;   in Loop: Header=BB12_130 Depth=2
	s_delay_alu instid0(VALU_DEP_1) | instskip(SKIP_2) | instid1(VALU_DEP_3)
	v_ashrrev_i32_e32 v4, 31, v3
	v_add_nc_u32_e32 v10, 1, v10
	v_add_nc_u32_e32 v9, 0x208, v9
	v_lshlrev_b64 v[3:4], 3, v[3:4]
	s_delay_alu instid0(VALU_DEP_3) | instskip(SKIP_1) | instid1(VALU_DEP_2)
	v_cmp_le_i32_e32 vcc_lo, s28, v10
	s_or_b32 s8, vcc_lo, s8
	v_add_co_u32 v3, s1, s12, v3
	s_delay_alu instid0(VALU_DEP_1)
	v_add_co_ci_u32_e64 v4, s1, s13, v4, s1
	s_waitcnt lgkmcnt(0)
	global_store_b64 v[3:4], v[1:2], off
	s_and_not1_b32 exec_lo, exec_lo, s8
	s_cbranch_execz .LBB12_126
.LBB12_130:                             ;   Parent Loop BB12_127 Depth=1
                                        ; =>  This Inner Loop Header: Depth=2
	ds_load_b64 v[1:2], v9
	s_and_b32 vcc_lo, exec_lo, s5
	s_cbranch_vccz .LBB12_132
; %bb.131:                              ;   in Loop: Header=BB12_130 Depth=2
	v_add_nc_u32_e32 v11, s3, v10
	s_delay_alu instid0(VALU_DEP_1)
	v_mad_u64_u32 v[3:4], null, v11, s28, v[5:6]
	s_cbranch_execnz .LBB12_129
	s_branch .LBB12_133
	.p2align	6
.LBB12_132:                             ;   in Loop: Header=BB12_130 Depth=2
                                        ; implicit-def: $vgpr3
.LBB12_133:                             ;   in Loop: Header=BB12_130 Depth=2
	v_add_nc_u32_e32 v3, v7, v10
	s_branch .LBB12_129
.LBB12_134:
	s_set_inst_prefetch_distance 0x2
	s_or_b32 exec_lo, exec_lo, s2
.LBB12_135:
	s_add_i32 s3, s30, 1
	s_delay_alu instid0(SALU_CYCLE_1)
	s_cmp_ge_i32 s3, s23
	s_cbranch_scc1 .LBB12_170
; %bb.136:
	v_and_b32_e32 v1, 0x3ff, v0
	v_bfe_u32 v8, v0, 10, 10
	s_mul_i32 s5, s30, s28
	s_cmp_lg_u32 s34, 0
	s_mul_i32 s7, s28, s28
	v_mad_u64_u32 v[2:3], null, s28, s3, v[1:2]
	v_lshlrev_b32_e32 v3, 3, v1
	v_add_nc_u32_e32 v4, s5, v8
	v_mul_u32_u24_e32 v5, 0x208, v1
	v_lshlrev_b32_e32 v6, 3, v8
	s_cselect_b32 s4, -1, 0
	s_cmp_gt_i32 s28, 0
	v_cmp_gt_i32_e64 s0, s28, v1
	v_cmp_gt_i32_e64 s1, s28, v8
	v_add_nc_u32_e32 v9, 1, v8
	v_mul_lo_u32 v10, s28, v2
	v_mad_u32_u24 v11, 0x208, v8, v3
	v_mad_u64_u32 v[2:3], null, s28, v4, s[28:29]
	v_add3_u32 v12, v5, v6, 8
	s_cselect_b32 s6, -1, 0
	s_lshl_b32 s8, s28, 6
	s_add_i32 s9, s28, 1
.LBB12_137:                             ; =>This Loop Header: Depth=1
                                        ;     Child Loop BB12_140 Depth 2
                                        ;       Child Loop BB12_143 Depth 3
                                        ;     Child Loop BB12_150 Depth 2
                                        ;       Child Loop BB12_153 Depth 3
                                        ;         Child Loop BB12_156 Depth 4
                                        ;     Child Loop BB12_161 Depth 2
                                        ;       Child Loop BB12_164 Depth 3
	s_mul_i32 s10, s3, s28
	s_waitcnt_vscnt null, 0x0
	buffer_gl0_inv
	s_and_saveexec_b32 s2, s0
	s_cbranch_execz .LBB12_147
; %bb.138:                              ;   in Loop: Header=BB12_137 Depth=1
	v_dual_mov_b32 v6, v11 :: v_dual_mov_b32 v7, v10
	v_mov_b32_e32 v3, v1
	s_mov_b32 s11, 0
	s_set_inst_prefetch_distance 0x1
	s_branch .LBB12_140
	.p2align	6
.LBB12_139:                             ;   in Loop: Header=BB12_140 Depth=2
	s_or_b32 exec_lo, exec_lo, s14
	v_add_nc_u32_e32 v3, 64, v3
	v_add_nc_u32_e32 v7, s8, v7
	;; [unrolled: 1-line block ×3, first 2 shown]
	s_delay_alu instid0(VALU_DEP_3) | instskip(SKIP_1) | instid1(SALU_CYCLE_1)
	v_cmp_le_i32_e32 vcc_lo, s28, v3
	s_or_b32 s11, vcc_lo, s11
	s_and_not1_b32 exec_lo, exec_lo, s11
	s_cbranch_execz .LBB12_147
.LBB12_140:                             ;   Parent Loop BB12_137 Depth=1
                                        ; =>  This Loop Header: Depth=2
                                        ;       Child Loop BB12_143 Depth 3
	s_and_saveexec_b32 s14, s1
	s_cbranch_execz .LBB12_139
; %bb.141:                              ;   in Loop: Header=BB12_140 Depth=2
	v_dual_mov_b32 v13, v6 :: v_dual_mov_b32 v14, v8
	s_mov_b32 s15, 0
	s_branch .LBB12_143
	.p2align	6
.LBB12_142:                             ;   in Loop: Header=BB12_143 Depth=3
	s_delay_alu instid0(VALU_DEP_1) | instskip(SKIP_1) | instid1(VALU_DEP_2)
	v_ashrrev_i32_e32 v5, 31, v4
	v_add_nc_u32_e32 v14, 1, v14
	v_lshlrev_b64 v[4:5], 3, v[4:5]
	s_delay_alu instid0(VALU_DEP_1) | instskip(NEXT) | instid1(VALU_DEP_2)
	v_add_co_u32 v4, vcc_lo, s12, v4
	v_add_co_ci_u32_e32 v5, vcc_lo, s13, v5, vcc_lo
	s_delay_alu instid0(VALU_DEP_4)
	v_cmp_le_i32_e32 vcc_lo, s28, v14
	global_load_b64 v[4:5], v[4:5], off
	s_or_b32 s15, vcc_lo, s15
	s_waitcnt vmcnt(0)
	ds_store_b64 v13, v[4:5]
	v_add_nc_u32_e32 v13, 0x208, v13
	s_and_not1_b32 exec_lo, exec_lo, s15
	s_cbranch_execz .LBB12_139
.LBB12_143:                             ;   Parent Loop BB12_137 Depth=1
                                        ;     Parent Loop BB12_140 Depth=2
                                        ; =>    This Inner Loop Header: Depth=3
	s_and_b32 vcc_lo, exec_lo, s4
	s_cbranch_vccz .LBB12_145
; %bb.144:                              ;   in Loop: Header=BB12_143 Depth=3
	v_add_nc_u32_e32 v15, s10, v14
	s_delay_alu instid0(VALU_DEP_1)
	v_mad_u64_u32 v[4:5], null, v15, s28, v[3:4]
	s_cbranch_execnz .LBB12_142
	s_branch .LBB12_146
	.p2align	6
.LBB12_145:                             ;   in Loop: Header=BB12_143 Depth=3
                                        ; implicit-def: $vgpr4
.LBB12_146:                             ;   in Loop: Header=BB12_143 Depth=3
	v_add_nc_u32_e32 v4, v7, v14
	s_branch .LBB12_142
.LBB12_147:                             ;   in Loop: Header=BB12_137 Depth=1
	s_set_inst_prefetch_distance 0x2
	s_or_b32 exec_lo, exec_lo, s2
	s_delay_alu instid0(SALU_CYCLE_1)
	s_and_not1_b32 vcc_lo, exec_lo, s6
	s_waitcnt lgkmcnt(0)
	buffer_gl0_inv
	s_cbranch_vccnz .LBB12_158
; %bb.148:                              ;   in Loop: Header=BB12_137 Depth=1
	v_dual_mov_b32 v5, v12 :: v_dual_mov_b32 v6, v2
	s_mov_b32 s11, 0
	s_branch .LBB12_150
.LBB12_149:                             ;   in Loop: Header=BB12_150 Depth=2
	s_set_inst_prefetch_distance 0x2
	s_or_b32 exec_lo, exec_lo, s14
	v_add_nc_u32_e32 v6, s9, v6
	v_add_nc_u32_e32 v5, 8, v5
	s_add_i32 s11, s11, 1
	s_delay_alu instid0(SALU_CYCLE_1)
	s_cmp_eq_u32 s11, s28
	s_cbranch_scc1 .LBB12_158
.LBB12_150:                             ;   Parent Loop BB12_137 Depth=1
                                        ; =>  This Loop Header: Depth=2
                                        ;       Child Loop BB12_153 Depth 3
                                        ;         Child Loop BB12_156 Depth 4
	s_and_saveexec_b32 s14, s0
	s_cbranch_execz .LBB12_149
; %bb.151:                              ;   in Loop: Header=BB12_150 Depth=2
	v_dual_mov_b32 v14, v1 :: v_dual_add_nc_u32 v7, s11, v9
	v_mov_b32_e32 v13, v5
	s_add_i32 s15, s11, s5
	s_mov_b32 s16, 0
	s_delay_alu instid0(VALU_DEP_2)
	v_cmp_gt_i32_e64 s2, s28, v7
	s_mul_i32 s15, s15, s28
	s_set_inst_prefetch_distance 0x1
	s_branch .LBB12_153
	.p2align	6
.LBB12_152:                             ;   in Loop: Header=BB12_153 Depth=3
	s_or_b32 exec_lo, exec_lo, s17
	v_add_nc_u32_e32 v14, 64, v14
	v_add_nc_u32_e32 v13, 0x8200, v13
	s_delay_alu instid0(VALU_DEP_2) | instskip(SKIP_1) | instid1(SALU_CYCLE_1)
	v_cmp_le_i32_e32 vcc_lo, s28, v14
	s_or_b32 s16, vcc_lo, s16
	s_and_not1_b32 exec_lo, exec_lo, s16
	s_cbranch_execz .LBB12_149
.LBB12_153:                             ;   Parent Loop BB12_137 Depth=1
                                        ;     Parent Loop BB12_150 Depth=2
                                        ; =>    This Loop Header: Depth=3
                                        ;         Child Loop BB12_156 Depth 4
	s_delay_alu instid0(VALU_DEP_1)
	s_and_saveexec_b32 s17, s2
	s_cbranch_execz .LBB12_152
; %bb.154:                              ;   in Loop: Header=BB12_153 Depth=3
	v_mul_lo_u32 v3, 0x208, v14
	v_dual_mov_b32 v15, v13 :: v_dual_mov_b32 v16, v6
	v_mov_b32_e32 v18, v7
	s_mov_b32 s29, 0
	s_delay_alu instid0(VALU_DEP_3)
	v_lshl_add_u32 v17, s11, 3, v3
	s_branch .LBB12_156
	.p2align	6
.LBB12_155:                             ;   in Loop: Header=BB12_156 Depth=4
	s_delay_alu instid0(VALU_DEP_1) | instskip(SKIP_2) | instid1(VALU_DEP_3)
	v_ashrrev_i32_e32 v4, 31, v3
	v_add_nc_u32_e32 v18, 1, v18
	v_add_nc_u32_e32 v16, s28, v16
	v_lshlrev_b64 v[3:4], 3, v[3:4]
	s_delay_alu instid0(VALU_DEP_1) | instskip(NEXT) | instid1(VALU_DEP_2)
	v_add_co_u32 v3, vcc_lo, s12, v3
	v_add_co_ci_u32_e32 v4, vcc_lo, s13, v4, vcc_lo
	v_cmp_le_i32_e32 vcc_lo, s28, v18
	global_load_b64 v[3:4], v[3:4], off
	ds_load_b64 v[19:20], v17
	ds_load_b64 v[21:22], v15
	s_or_b32 s29, vcc_lo, s29
	s_waitcnt vmcnt(0) lgkmcnt(0)
	v_fma_f64 v[3:4], -v[3:4], v[19:20], v[21:22]
	ds_store_b64 v15, v[3:4]
	v_add_nc_u32_e32 v15, 8, v15
	s_and_not1_b32 exec_lo, exec_lo, s29
	s_cbranch_execz .LBB12_152
.LBB12_156:                             ;   Parent Loop BB12_137 Depth=1
                                        ;     Parent Loop BB12_150 Depth=2
                                        ;       Parent Loop BB12_153 Depth=3
                                        ; =>      This Inner Loop Header: Depth=4
	v_mov_b32_e32 v3, v16
	s_and_not1_b32 vcc_lo, exec_lo, s4
	s_cbranch_vccnz .LBB12_155
; %bb.157:                              ;   in Loop: Header=BB12_156 Depth=4
	v_add_nc_u32_e32 v3, s15, v18
	s_branch .LBB12_155
.LBB12_158:                             ;   in Loop: Header=BB12_137 Depth=1
	s_waitcnt lgkmcnt(0)
	buffer_gl0_inv
	s_and_saveexec_b32 s11, s0
	s_cbranch_execz .LBB12_168
; %bb.159:                              ;   in Loop: Header=BB12_137 Depth=1
	v_dual_mov_b32 v13, v11 :: v_dual_mov_b32 v14, v10
	v_mov_b32_e32 v3, v1
	s_mov_b32 s14, 0
	s_set_inst_prefetch_distance 0x1
	s_branch .LBB12_161
	.p2align	6
.LBB12_160:                             ;   in Loop: Header=BB12_161 Depth=2
	s_or_b32 exec_lo, exec_lo, s15
	v_add_nc_u32_e32 v3, 64, v3
	v_add_nc_u32_e32 v14, s8, v14
	;; [unrolled: 1-line block ×3, first 2 shown]
	s_delay_alu instid0(VALU_DEP_3) | instskip(SKIP_1) | instid1(SALU_CYCLE_1)
	v_cmp_le_i32_e32 vcc_lo, s28, v3
	s_or_b32 s14, vcc_lo, s14
	s_and_not1_b32 exec_lo, exec_lo, s14
	s_cbranch_execz .LBB12_168
.LBB12_161:                             ;   Parent Loop BB12_137 Depth=1
                                        ; =>  This Loop Header: Depth=2
                                        ;       Child Loop BB12_164 Depth 3
	s_and_saveexec_b32 s15, s1
	s_cbranch_execz .LBB12_160
; %bb.162:                              ;   in Loop: Header=BB12_161 Depth=2
	v_dual_mov_b32 v15, v13 :: v_dual_mov_b32 v16, v8
	s_mov_b32 s16, 0
	s_branch .LBB12_164
	.p2align	6
.LBB12_163:                             ;   in Loop: Header=BB12_164 Depth=3
	s_delay_alu instid0(VALU_DEP_1) | instskip(SKIP_2) | instid1(VALU_DEP_3)
	v_ashrrev_i32_e32 v7, 31, v6
	v_add_nc_u32_e32 v16, 1, v16
	v_add_nc_u32_e32 v15, 0x208, v15
	v_lshlrev_b64 v[6:7], 3, v[6:7]
	s_delay_alu instid0(VALU_DEP_3) | instskip(SKIP_1) | instid1(VALU_DEP_2)
	v_cmp_le_i32_e32 vcc_lo, s28, v16
	s_or_b32 s16, vcc_lo, s16
	v_add_co_u32 v6, s2, s12, v6
	s_delay_alu instid0(VALU_DEP_1)
	v_add_co_ci_u32_e64 v7, s2, s13, v7, s2
	s_waitcnt lgkmcnt(0)
	global_store_b64 v[6:7], v[4:5], off
	s_and_not1_b32 exec_lo, exec_lo, s16
	s_cbranch_execz .LBB12_160
.LBB12_164:                             ;   Parent Loop BB12_137 Depth=1
                                        ;     Parent Loop BB12_161 Depth=2
                                        ; =>    This Inner Loop Header: Depth=3
	ds_load_b64 v[4:5], v15
	s_and_b32 vcc_lo, exec_lo, s4
	s_cbranch_vccz .LBB12_166
; %bb.165:                              ;   in Loop: Header=BB12_164 Depth=3
	v_add_nc_u32_e32 v17, s10, v16
	s_waitcnt lgkmcnt(0)
	s_delay_alu instid0(VALU_DEP_1)
	v_mad_u64_u32 v[6:7], null, v17, s28, v[3:4]
	s_cbranch_execnz .LBB12_163
	s_branch .LBB12_167
	.p2align	6
.LBB12_166:                             ;   in Loop: Header=BB12_164 Depth=3
                                        ; implicit-def: $vgpr6
.LBB12_167:                             ;   in Loop: Header=BB12_164 Depth=3
	v_add_nc_u32_e32 v6, v14, v16
	s_branch .LBB12_163
.LBB12_168:                             ;   in Loop: Header=BB12_137 Depth=1
	s_set_inst_prefetch_distance 0x2
	s_or_b32 exec_lo, exec_lo, s11
; %bb.169:                              ;   in Loop: Header=BB12_137 Depth=1
	v_add_nc_u32_e32 v10, s7, v10
	s_add_i32 s3, s3, 1
	s_delay_alu instid0(SALU_CYCLE_1)
	s_cmp_ge_i32 s3, s23
	s_cbranch_scc0 .LBB12_137
.LBB12_170:
	s_waitcnt vmcnt(0)
	v_and_b32_e32 v1, 0x3ff, v0
	v_bfe_u32 v0, v0, 10, 10
	s_mov_b32 s0, exec_lo
	s_delay_alu instid0(VALU_DEP_1) | instskip(NEXT) | instid1(VALU_DEP_1)
	v_or_b32_e32 v0, v1, v0
	v_cmpx_eq_u32_e32 0, v0
	s_cbranch_execz .LBB12_174
; %bb.171:
	v_dual_mov_b32 v0, 0 :: v_dual_mov_b32 v1, 1
	s_add_u32 s0, s20, s26
	s_addc_u32 s1, s21, s27
	s_and_not1_b32 vcc_lo, exec_lo, s25
	s_waitcnt_vscnt null, 0x0
	global_store_b32 v0, v1, s[0:1]
	s_cbranch_vccnz .LBB12_174
; %bb.172:
	v_mbcnt_lo_u32_b32 v0, exec_lo, 0
	s_delay_alu instid0(VALU_DEP_1)
	v_cmp_eq_u32_e32 vcc_lo, 0, v0
	s_and_b32 exec_lo, exec_lo, vcc_lo
	s_cbranch_execz .LBB12_174
; %bb.173:
	s_add_i32 s0, s22, s24
	s_delay_alu instid0(SALU_CYCLE_1)
	v_dual_mov_b32 v0, 0 :: v_dual_mov_b32 v1, s0
	global_atomic_min_i32 v0, v1, s[18:19]
.LBB12_174:
	s_nop 0
	s_sendmsg sendmsg(MSG_DEALLOC_VGPRS)
	s_endpgm
	.section	.rodata,"a",@progbits
	.p2align	6, 0x0
	.amdhsa_kernel _ZN9rocsparseL13bsrilu0_33_64ILj64ELj64ELj64EdEEv20rocsparse_direction_iPKiS3_PT2_S3_iPiS3_S6_21rocsparse_index_base_imNS_24const_host_device_scalarIfEENS8_IdEENS8_IS4_EEb
		.amdhsa_group_segment_fixed_size 33280
		.amdhsa_private_segment_fixed_size 0
		.amdhsa_kernarg_size 116
		.amdhsa_user_sgpr_count 15
		.amdhsa_user_sgpr_dispatch_ptr 0
		.amdhsa_user_sgpr_queue_ptr 0
		.amdhsa_user_sgpr_kernarg_segment_ptr 1
		.amdhsa_user_sgpr_dispatch_id 0
		.amdhsa_user_sgpr_private_segment_size 0
		.amdhsa_wavefront_size32 1
		.amdhsa_uses_dynamic_stack 0
		.amdhsa_enable_private_segment 0
		.amdhsa_system_sgpr_workgroup_id_x 1
		.amdhsa_system_sgpr_workgroup_id_y 0
		.amdhsa_system_sgpr_workgroup_id_z 0
		.amdhsa_system_sgpr_workgroup_info 0
		.amdhsa_system_vgpr_workitem_id 1
		.amdhsa_next_free_vgpr 37
		.amdhsa_next_free_sgpr 50
		.amdhsa_reserve_vcc 1
		.amdhsa_float_round_mode_32 0
		.amdhsa_float_round_mode_16_64 0
		.amdhsa_float_denorm_mode_32 3
		.amdhsa_float_denorm_mode_16_64 3
		.amdhsa_dx10_clamp 1
		.amdhsa_ieee_mode 1
		.amdhsa_fp16_overflow 0
		.amdhsa_workgroup_processor_mode 1
		.amdhsa_memory_ordered 1
		.amdhsa_forward_progress 0
		.amdhsa_shared_vgpr_count 0
		.amdhsa_exception_fp_ieee_invalid_op 0
		.amdhsa_exception_fp_denorm_src 0
		.amdhsa_exception_fp_ieee_div_zero 0
		.amdhsa_exception_fp_ieee_overflow 0
		.amdhsa_exception_fp_ieee_underflow 0
		.amdhsa_exception_fp_ieee_inexact 0
		.amdhsa_exception_int_div_zero 0
	.end_amdhsa_kernel
	.section	.text._ZN9rocsparseL13bsrilu0_33_64ILj64ELj64ELj64EdEEv20rocsparse_direction_iPKiS3_PT2_S3_iPiS3_S6_21rocsparse_index_base_imNS_24const_host_device_scalarIfEENS8_IdEENS8_IS4_EEb,"axG",@progbits,_ZN9rocsparseL13bsrilu0_33_64ILj64ELj64ELj64EdEEv20rocsparse_direction_iPKiS3_PT2_S3_iPiS3_S6_21rocsparse_index_base_imNS_24const_host_device_scalarIfEENS8_IdEENS8_IS4_EEb,comdat
.Lfunc_end12:
	.size	_ZN9rocsparseL13bsrilu0_33_64ILj64ELj64ELj64EdEEv20rocsparse_direction_iPKiS3_PT2_S3_iPiS3_S6_21rocsparse_index_base_imNS_24const_host_device_scalarIfEENS8_IdEENS8_IS4_EEb, .Lfunc_end12-_ZN9rocsparseL13bsrilu0_33_64ILj64ELj64ELj64EdEEv20rocsparse_direction_iPKiS3_PT2_S3_iPiS3_S6_21rocsparse_index_base_imNS_24const_host_device_scalarIfEENS8_IdEENS8_IS4_EEb
                                        ; -- End function
	.section	.AMDGPU.csdata,"",@progbits
; Kernel info:
; codeLenInByte = 5192
; NumSgprs: 52
; NumVgprs: 37
; ScratchSize: 0
; MemoryBound: 0
; FloatMode: 240
; IeeeMode: 1
; LDSByteSize: 33280 bytes/workgroup (compile time only)
; SGPRBlocks: 6
; VGPRBlocks: 4
; NumSGPRsForWavesPerEU: 52
; NumVGPRsForWavesPerEU: 37
; Occupancy: 2
; WaveLimiterHint : 1
; COMPUTE_PGM_RSRC2:SCRATCH_EN: 0
; COMPUTE_PGM_RSRC2:USER_SGPR: 15
; COMPUTE_PGM_RSRC2:TRAP_HANDLER: 0
; COMPUTE_PGM_RSRC2:TGID_X_EN: 1
; COMPUTE_PGM_RSRC2:TGID_Y_EN: 0
; COMPUTE_PGM_RSRC2:TGID_Z_EN: 0
; COMPUTE_PGM_RSRC2:TIDIG_COMP_CNT: 1
	.section	.text._ZN9rocsparseL15bsrilu0_generalILj128ELj64ELb0EdEEv20rocsparse_direction_iPKiS3_PT2_S3_iPiS3_S6_21rocsparse_index_base_imNS_24const_host_device_scalarIfEENS8_IdEENS8_IS4_EEb,"axG",@progbits,_ZN9rocsparseL15bsrilu0_generalILj128ELj64ELb0EdEEv20rocsparse_direction_iPKiS3_PT2_S3_iPiS3_S6_21rocsparse_index_base_imNS_24const_host_device_scalarIfEENS8_IdEENS8_IS4_EEb,comdat
	.globl	_ZN9rocsparseL15bsrilu0_generalILj128ELj64ELb0EdEEv20rocsparse_direction_iPKiS3_PT2_S3_iPiS3_S6_21rocsparse_index_base_imNS_24const_host_device_scalarIfEENS8_IdEENS8_IS4_EEb ; -- Begin function _ZN9rocsparseL15bsrilu0_generalILj128ELj64ELb0EdEEv20rocsparse_direction_iPKiS3_PT2_S3_iPiS3_S6_21rocsparse_index_base_imNS_24const_host_device_scalarIfEENS8_IdEENS8_IS4_EEb
	.p2align	8
	.type	_ZN9rocsparseL15bsrilu0_generalILj128ELj64ELb0EdEEv20rocsparse_direction_iPKiS3_PT2_S3_iPiS3_S6_21rocsparse_index_base_imNS_24const_host_device_scalarIfEENS8_IdEENS8_IS4_EEb,@function
_ZN9rocsparseL15bsrilu0_generalILj128ELj64ELb0EdEEv20rocsparse_direction_iPKiS3_PT2_S3_iPiS3_S6_21rocsparse_index_base_imNS_24const_host_device_scalarIfEENS8_IdEENS8_IS4_EEb: ; @_ZN9rocsparseL15bsrilu0_generalILj128ELj64ELb0EdEEv20rocsparse_direction_iPKiS3_PT2_S3_iPiS3_S6_21rocsparse_index_base_imNS_24const_host_device_scalarIfEENS8_IdEENS8_IS4_EEb
; %bb.0:
	s_clause 0x2
	s_load_b32 s2, s[0:1], 0x70
	s_load_b64 s[24:25], s[0:1], 0x48
	s_load_b256 s[16:23], s[0:1], 0x50
	s_waitcnt lgkmcnt(0)
	s_bitcmp1_b32 s2, 0
	s_cselect_b32 s5, -1, 0
	s_cmp_lg_u32 s25, 0
	s_cselect_b32 s26, -1, 0
	s_cmp_eq_u32 s25, 0
	s_cselect_b32 s4, -1, 0
	s_delay_alu instid0(SALU_CYCLE_1) | instskip(SKIP_3) | instid1(SALU_CYCLE_1)
	s_and_b32 s2, s4, exec_lo
	s_cselect_b32 s2, 0, s20
	s_cselect_b32 s3, 0, s21
	s_or_b32 s5, s4, s5
	s_and_b32 vcc_lo, exec_lo, s5
	s_xor_b32 s5, s5, -1
	s_cbranch_vccnz .LBB13_2
; %bb.1:
	s_load_b32 s2, s[18:19], 0x0
	s_waitcnt lgkmcnt(0)
	v_mov_b32_e32 v26, s2
	s_mov_b64 s[2:3], s[20:21]
	s_branch .LBB13_3
.LBB13_2:
	v_cndmask_b32_e64 v26, s18, 0, s4
.LBB13_3:
	v_cndmask_b32_e64 v1, 0, 1, s5
	v_dual_mov_b32 v9, s3 :: v_dual_mov_b32 v8, s2
	s_and_not1_b32 vcc_lo, exec_lo, s5
	s_cbranch_vccnz .LBB13_5
; %bb.4:
	v_dual_mov_b32 v2, s20 :: v_dual_mov_b32 v3, s21
	flat_load_b64 v[8:9], v[2:3]
.LBB13_5:
	s_and_b32 s2, s4, exec_lo
	s_cselect_b32 s3, 0, s23
	v_cmp_ne_u32_e32 vcc_lo, 1, v1
	s_cselect_b32 s2, 0, s22
	s_delay_alu instid0(SALU_CYCLE_1)
	v_dual_mov_b32 v5, s3 :: v_dual_mov_b32 v4, s2
	s_cbranch_vccnz .LBB13_7
; %bb.6:
	v_dual_mov_b32 v1, s22 :: v_dual_mov_b32 v2, s23
	flat_load_b64 v[4:5], v[1:2]
.LBB13_7:
	s_load_b64 s[20:21], s[0:1], 0x0
	v_lshrrev_b32_e32 v1, 6, v0
	s_lshl_b32 s2, s15, 1
	s_delay_alu instid0(VALU_DEP_1) | instid1(SALU_CYCLE_1)
	v_and_or_b32 v1, 0x3fffffe, s2, v1
	s_mov_b32 s2, exec_lo
	s_waitcnt lgkmcnt(0)
	s_delay_alu instid0(VALU_DEP_1)
	v_cmpx_gt_i32_e64 s21, v1
	s_cbranch_execz .LBB13_152
; %bb.8:
	s_clause 0x1
	s_load_b128 s[12:15], s[0:1], 0x30
	s_load_b64 s[18:19], s[0:1], 0x40
	v_lshlrev_b32_e32 v1, 2, v1
	s_load_b256 s[4:11], s[0:1], 0x8
	v_and_b32_e32 v0, 63, v0
	s_mov_b32 s2, -1
	s_waitcnt lgkmcnt(0)
	global_load_b32 v1, v1, s[14:15]
	s_mov_b32 s15, exec_lo
	s_waitcnt vmcnt(0)
	v_ashrrev_i32_e32 v2, 31, v1
	s_delay_alu instid0(VALU_DEP_1) | instskip(NEXT) | instid1(VALU_DEP_1)
	v_lshlrev_b64 v[2:3], 2, v[1:2]
	v_add_co_u32 v6, vcc_lo, s10, v2
	s_delay_alu instid0(VALU_DEP_2)
	v_add_co_ci_u32_e32 v7, vcc_lo, s11, v3, vcc_lo
	global_load_b32 v6, v[6:7], off
	s_waitcnt vmcnt(0)
	v_cmpx_ne_u32_e32 -1, v6
	s_cbranch_execz .LBB13_146
; %bb.9:
	v_add_co_u32 v10, vcc_lo, s4, v2
	v_add_co_ci_u32_e32 v11, vcc_lo, s5, v3, vcc_lo
	s_load_b32 s14, s[0:1], 0x28
	s_mov_b32 s3, 0
	s_mov_b32 s22, exec_lo
	global_load_b64 v[10:11], v[10:11], off
	s_waitcnt vmcnt(0)
	v_subrev_nc_u32_e32 v10, s24, v10
	v_subrev_nc_u32_e32 v25, s24, v11
	s_delay_alu instid0(VALU_DEP_2)
	v_cmpx_lt_i32_e64 v10, v6
	s_cbranch_execz .LBB13_81
; %bb.10:
	v_add_nc_u32_e32 v12, v10, v0
	s_waitcnt lgkmcnt(0)
	v_mad_u64_u32 v[15:16], null, s14, v10, v[0:1]
	s_cmp_gt_i32 s14, 0
	v_cmp_gt_i32_e64 s0, s14, v0
	v_ashrrev_i32_e32 v13, 31, v12
	s_cselect_b32 s23, -1, 0
	s_cmp_lg_u32 s20, 0
	v_cmp_le_i32_e64 s1, s14, v0
	s_delay_alu instid0(VALU_DEP_4)
	v_mul_lo_u32 v27, s14, v15
	v_lshlrev_b64 v[13:14], 2, v[12:13]
	s_cselect_b32 s27, -1, 0
	s_add_i32 s21, s21, 1
	v_cmp_lt_i32_e64 s2, v12, v25
	s_add_u32 s28, s4, 4
	s_addc_u32 s29, s5, 0
	v_add_co_u32 v13, vcc_lo, s6, v13
	v_add_co_ci_u32_e32 v14, vcc_lo, s7, v14, vcc_lo
	s_add_u32 s30, s6, 0x100
	s_mov_b32 s25, 0
	s_addc_u32 s31, s7, 0
	s_mul_i32 s33, s14, s14
	s_lshl_b32 s34, s14, 6
	s_mov_b32 s35, 0
                                        ; implicit-def: $sgpr36
                                        ; implicit-def: $sgpr37
	s_branch .LBB13_13
.LBB13_11:                              ;   in Loop: Header=BB13_13 Depth=1
	s_or_b32 exec_lo, exec_lo, s4
	s_delay_alu instid0(SALU_CYCLE_1) | instskip(SKIP_1) | instid1(SALU_CYCLE_1)
	s_and_not1_b32 s4, s37, exec_lo
	s_and_b32 s5, s25, exec_lo
	s_or_b32 s37, s4, s5
.LBB13_12:                              ;   in Loop: Header=BB13_13 Depth=1
	s_or_b32 exec_lo, exec_lo, s38
	v_add_nc_u32_e32 v10, 1, v10
	s_xor_b32 s3, s3, -1
	v_add_nc_u32_e32 v27, s33, v27
	s_mov_b32 s25, s37
	s_delay_alu instid0(VALU_DEP_2) | instskip(SKIP_1) | instid1(SALU_CYCLE_1)
	v_cmp_ge_i32_e32 vcc_lo, v10, v6
	s_or_b32 s3, s3, vcc_lo
	s_and_b32 s3, exec_lo, s3
	s_delay_alu instid0(SALU_CYCLE_1) | instskip(SKIP_2) | instid1(SALU_CYCLE_1)
	s_or_b32 s35, s3, s35
	s_and_not1_b32 s3, s36, exec_lo
	s_and_b32 s4, s37, exec_lo
	s_or_b32 s36, s3, s4
	s_and_not1_b32 exec_lo, exec_lo, s35
	s_cbranch_execz .LBB13_80
.LBB13_13:                              ; =>This Loop Header: Depth=1
                                        ;     Child Loop BB13_16 Depth 2
                                        ;     Child Loop BB13_21 Depth 2
                                        ;       Child Loop BB13_26 Depth 3
                                        ;         Child Loop BB13_36 Depth 4
                                        ;     Child Loop BB13_54 Depth 2
                                        ;       Child Loop BB13_59 Depth 3
                                        ;       Child Loop BB13_66 Depth 3
                                        ;         Child Loop BB13_69 Depth 4
                                        ;           Child Loop BB13_71 Depth 5
	v_ashrrev_i32_e32 v11, 31, v10
	s_or_b32 s37, s37, exec_lo
	s_delay_alu instid0(VALU_DEP_1) | instskip(NEXT) | instid1(VALU_DEP_1)
	v_lshlrev_b64 v[15:16], 2, v[10:11]
	v_add_co_u32 v15, vcc_lo, s6, v15
	s_delay_alu instid0(VALU_DEP_2) | instskip(SKIP_4) | instid1(VALU_DEP_1)
	v_add_co_ci_u32_e32 v16, vcc_lo, s7, v16, vcc_lo
	s_waitcnt lgkmcnt(0)
	global_load_b32 v7, v[15:16], off
	s_waitcnt vmcnt(0)
	v_subrev_nc_u32_e32 v15, s24, v7
	v_ashrrev_i32_e32 v16, 31, v15
	s_delay_alu instid0(VALU_DEP_1) | instskip(NEXT) | instid1(VALU_DEP_1)
	v_lshlrev_b64 v[15:16], 2, v[15:16]
	v_add_co_u32 v17, vcc_lo, s10, v15
	s_delay_alu instid0(VALU_DEP_2) | instskip(SKIP_3) | instid1(VALU_DEP_1)
	v_add_co_ci_u32_e32 v18, vcc_lo, s11, v16, vcc_lo
	global_load_b32 v29, v[17:18], off
	s_waitcnt vmcnt(0)
	v_cmp_ne_u32_e64 s3, -1, v29
	s_and_saveexec_b32 s38, s3
	s_cbranch_execz .LBB13_12
; %bb.14:                               ;   in Loop: Header=BB13_13 Depth=1
	v_add_co_u32 v17, vcc_lo, s28, v15
	v_add_co_ci_u32_e32 v18, vcc_lo, s29, v16, vcc_lo
	v_add_co_u32 v15, vcc_lo, s12, v15
	v_add_co_ci_u32_e32 v16, vcc_lo, s13, v16, vcc_lo
	s_mov_b32 s4, exec_lo
	global_load_b32 v30, v[17:18], off
	global_load_b32 v7, v[15:16], off glc
	s_waitcnt vmcnt(0)
	v_cmpx_eq_u32_e32 0, v7
	s_cbranch_execz .LBB13_17
; %bb.15:                               ;   in Loop: Header=BB13_13 Depth=1
	s_mov_b32 s5, 0
.LBB13_16:                              ;   Parent Loop BB13_13 Depth=1
                                        ; =>  This Inner Loop Header: Depth=2
	global_load_b32 v7, v[15:16], off glc
	s_waitcnt vmcnt(0)
	v_cmp_ne_u32_e32 vcc_lo, 0, v7
	s_or_b32 s5, vcc_lo, s5
	s_delay_alu instid0(SALU_CYCLE_1)
	s_and_not1_b32 exec_lo, exec_lo, s5
	s_cbranch_execnz .LBB13_16
.LBB13_17:                              ;   in Loop: Header=BB13_13 Depth=1
	s_or_b32 exec_lo, exec_lo, s4
	v_mul_lo_u32 v28, v10, s14
	s_and_not1_b32 vcc_lo, exec_lo, s23
	buffer_gl1_inv
	buffer_gl0_inv
	s_cbranch_vccnz .LBB13_50
; %bb.18:                               ;   in Loop: Header=BB13_13 Depth=1
	v_mul_lo_u32 v31, v29, s14
	v_mov_b32_e32 v7, 0
	s_mov_b32 s39, 0
	s_branch .LBB13_21
.LBB13_19:                              ;   in Loop: Header=BB13_21 Depth=2
	s_or_b32 exec_lo, exec_lo, s41
	v_mov_b32_e32 v7, v32
.LBB13_20:                              ;   in Loop: Header=BB13_21 Depth=2
	s_or_b32 exec_lo, exec_lo, s40
	s_delay_alu instid0(VALU_DEP_1) | instskip(SKIP_1) | instid1(SALU_CYCLE_1)
	v_cmp_eq_u32_e32 vcc_lo, s14, v7
	s_or_b32 s39, vcc_lo, s39
	s_and_not1_b32 exec_lo, exec_lo, s39
	s_cbranch_execz .LBB13_49
.LBB13_21:                              ;   Parent Loop BB13_13 Depth=1
                                        ; =>  This Loop Header: Depth=2
                                        ;       Child Loop BB13_26 Depth 3
                                        ;         Child Loop BB13_36 Depth 4
	s_delay_alu instid0(VALU_DEP_1) | instskip(SKIP_1) | instid1(SALU_CYCLE_1)
	v_add_nc_u32_e32 v32, 1, v7
	s_and_saveexec_b32 s4, s1
	s_xor_b32 s4, exec_lo, s4
; %bb.22:                               ;   in Loop: Header=BB13_21 Depth=2
	v_add_nc_u32_e32 v7, 1, v7
                                        ; implicit-def: $vgpr32
; %bb.23:                               ;   in Loop: Header=BB13_21 Depth=2
	s_and_not1_saveexec_b32 s40, s4
	s_cbranch_execz .LBB13_20
; %bb.24:                               ;   in Loop: Header=BB13_21 Depth=2
	s_delay_alu instid0(VALU_DEP_1) | instskip(SKIP_3) | instid1(VALU_DEP_3)
	v_add_nc_u32_e32 v11, v7, v31
	v_cmp_gt_i32_e64 s4, s14, v32
	v_mov_b32_e32 v35, v27
	s_mov_b32 s41, 0
	v_mul_lo_u32 v33, v11, s14
	v_add_nc_u32_e32 v11, v7, v28
	s_delay_alu instid0(VALU_DEP_1) | instskip(SKIP_1) | instid1(VALU_DEP_4)
	v_mul_lo_u32 v34, v11, s14
	v_mov_b32_e32 v11, v0
	v_add_nc_u32_e32 v15, v33, v7
	s_delay_alu instid0(VALU_DEP_1) | instskip(NEXT) | instid1(VALU_DEP_1)
	v_ashrrev_i32_e32 v16, 31, v15
	v_lshlrev_b64 v[15:16], 3, v[15:16]
	s_delay_alu instid0(VALU_DEP_1) | instskip(NEXT) | instid1(VALU_DEP_2)
	v_add_co_u32 v15, vcc_lo, s8, v15
	v_add_co_ci_u32_e32 v16, vcc_lo, s9, v16, vcc_lo
	global_load_b64 v[15:16], v[15:16], off
	s_branch .LBB13_26
.LBB13_25:                              ;   in Loop: Header=BB13_26 Depth=3
	s_or_b32 exec_lo, exec_lo, s42
	v_add_nc_u32_e32 v11, 64, v11
	v_add_nc_u32_e32 v35, s34, v35
	s_delay_alu instid0(VALU_DEP_2) | instskip(SKIP_1) | instid1(SALU_CYCLE_1)
	v_cmp_le_i32_e32 vcc_lo, s14, v11
	s_or_b32 s41, vcc_lo, s41
	s_and_not1_b32 exec_lo, exec_lo, s41
	s_cbranch_execz .LBB13_19
.LBB13_26:                              ;   Parent Loop BB13_13 Depth=1
                                        ;     Parent Loop BB13_21 Depth=2
                                        ; =>    This Loop Header: Depth=3
                                        ;         Child Loop BB13_36 Depth 4
	v_add_nc_u32_e32 v19, v11, v34
	s_and_b32 vcc_lo, exec_lo, s27
	s_cbranch_vccz .LBB13_47
; %bb.27:                               ;   in Loop: Header=BB13_26 Depth=3
	v_add_nc_u32_e32 v17, v11, v34
	v_add_nc_u32_e32 v21, v11, v28
	s_cbranch_execnz .LBB13_29
.LBB13_28:                              ;   in Loop: Header=BB13_26 Depth=3
	s_delay_alu instid0(VALU_DEP_1)
	v_mad_u64_u32 v[17:18], null, v21, s14, v[7:8]
.LBB13_29:                              ;   in Loop: Header=BB13_26 Depth=3
	s_delay_alu instid0(VALU_DEP_1) | instskip(NEXT) | instid1(VALU_DEP_1)
	v_ashrrev_i32_e32 v18, 31, v17
	v_lshlrev_b64 v[17:18], 3, v[17:18]
	s_delay_alu instid0(VALU_DEP_1) | instskip(NEXT) | instid1(VALU_DEP_2)
	v_add_co_u32 v17, vcc_lo, s8, v17
	v_add_co_ci_u32_e32 v18, vcc_lo, s9, v18, vcc_lo
	s_and_b32 vcc_lo, exec_lo, s27
	global_load_b64 v[17:18], v[17:18], off
	s_cbranch_vccz .LBB13_48
; %bb.30:                               ;   in Loop: Header=BB13_26 Depth=3
	s_cbranch_execnz .LBB13_32
.LBB13_31:                              ;   in Loop: Header=BB13_26 Depth=3
	v_mad_u64_u32 v[19:20], null, v21, s14, v[7:8]
.LBB13_32:                              ;   in Loop: Header=BB13_26 Depth=3
	s_waitcnt vmcnt(0)
	v_div_scale_f64 v[20:21], null, v[15:16], v[15:16], v[17:18]
	s_delay_alu instid0(VALU_DEP_1) | instskip(SKIP_2) | instid1(VALU_DEP_1)
	v_rcp_f64_e32 v[22:23], v[20:21]
	s_waitcnt_depctr 0xfff
	v_fma_f64 v[36:37], -v[20:21], v[22:23], 1.0
	v_fma_f64 v[22:23], v[22:23], v[36:37], v[22:23]
	s_delay_alu instid0(VALU_DEP_1) | instskip(NEXT) | instid1(VALU_DEP_1)
	v_fma_f64 v[36:37], -v[20:21], v[22:23], 1.0
	v_fma_f64 v[22:23], v[22:23], v[36:37], v[22:23]
	v_div_scale_f64 v[36:37], vcc_lo, v[17:18], v[15:16], v[17:18]
	s_delay_alu instid0(VALU_DEP_1) | instskip(NEXT) | instid1(VALU_DEP_1)
	v_mul_f64 v[38:39], v[36:37], v[22:23]
	v_fma_f64 v[20:21], -v[20:21], v[38:39], v[36:37]
	s_delay_alu instid0(VALU_DEP_1) | instskip(NEXT) | instid1(VALU_DEP_1)
	v_div_fmas_f64 v[20:21], v[20:21], v[22:23], v[38:39]
	v_div_fixup_f64 v[17:18], v[20:21], v[15:16], v[17:18]
	v_ashrrev_i32_e32 v20, 31, v19
	s_delay_alu instid0(VALU_DEP_1) | instskip(NEXT) | instid1(VALU_DEP_1)
	v_lshlrev_b64 v[19:20], 3, v[19:20]
	v_add_co_u32 v19, vcc_lo, s8, v19
	s_delay_alu instid0(VALU_DEP_2)
	v_add_co_ci_u32_e32 v20, vcc_lo, s9, v20, vcc_lo
	global_store_b64 v[19:20], v[17:18], off
	s_and_saveexec_b32 s42, s4
	s_cbranch_execz .LBB13_25
; %bb.33:                               ;   in Loop: Header=BB13_26 Depth=3
	v_mov_b32_e32 v36, v32
	s_mov_b32 s43, 0
	s_branch .LBB13_36
.LBB13_34:                              ;   in Loop: Header=BB13_36 Depth=4
	v_mov_b32_e32 v21, v38
.LBB13_35:                              ;   in Loop: Header=BB13_36 Depth=4
	s_waitcnt vmcnt(0)
	v_fma_f64 v[19:20], -v[17:18], v[19:20], v[23:24]
	s_delay_alu instid0(VALU_DEP_2) | instskip(SKIP_1) | instid1(VALU_DEP_2)
	v_ashrrev_i32_e32 v22, 31, v21
	v_add_nc_u32_e32 v36, 1, v36
	v_lshlrev_b64 v[21:22], 3, v[21:22]
	s_delay_alu instid0(VALU_DEP_2) | instskip(SKIP_1) | instid1(VALU_DEP_2)
	v_cmp_le_i32_e32 vcc_lo, s14, v36
	s_or_b32 s43, vcc_lo, s43
	v_add_co_u32 v21, s5, s8, v21
	s_delay_alu instid0(VALU_DEP_1)
	v_add_co_ci_u32_e64 v22, s5, s9, v22, s5
	global_store_b64 v[21:22], v[19:20], off
	s_and_not1_b32 exec_lo, exec_lo, s43
	s_cbranch_execz .LBB13_25
.LBB13_36:                              ;   Parent Loop BB13_13 Depth=1
                                        ;     Parent Loop BB13_21 Depth=2
                                        ;       Parent Loop BB13_26 Depth=3
                                        ; =>      This Inner Loop Header: Depth=4
	s_and_b32 vcc_lo, exec_lo, s27
	s_cbranch_vccz .LBB13_44
; %bb.37:                               ;   in Loop: Header=BB13_36 Depth=4
	v_add_nc_u32_e32 v21, v36, v31
	s_delay_alu instid0(VALU_DEP_1)
	v_mad_u64_u32 v[19:20], null, v21, s14, v[7:8]
	s_cbranch_execnz .LBB13_39
.LBB13_38:                              ;   in Loop: Header=BB13_36 Depth=4
	v_add_nc_u32_e32 v19, v33, v36
.LBB13_39:                              ;   in Loop: Header=BB13_36 Depth=4
	s_delay_alu instid0(VALU_DEP_1) | instskip(SKIP_1) | instid1(VALU_DEP_2)
	v_ashrrev_i32_e32 v20, 31, v19
	v_add_nc_u32_e32 v37, v36, v28
	v_lshlrev_b64 v[19:20], 3, v[19:20]
	s_delay_alu instid0(VALU_DEP_1) | instskip(NEXT) | instid1(VALU_DEP_2)
	v_add_co_u32 v19, vcc_lo, s8, v19
	v_add_co_ci_u32_e32 v20, vcc_lo, s9, v20, vcc_lo
	s_and_b32 vcc_lo, exec_lo, s27
	global_load_b64 v[19:20], v[19:20], off
	s_cbranch_vccz .LBB13_45
; %bb.40:                               ;   in Loop: Header=BB13_36 Depth=4
	v_mad_u64_u32 v[21:22], null, v37, s14, v[11:12]
	v_add_nc_u32_e32 v38, v35, v36
	s_cbranch_execnz .LBB13_42
.LBB13_41:                              ;   in Loop: Header=BB13_36 Depth=4
	v_add_nc_u32_e32 v21, v35, v36
.LBB13_42:                              ;   in Loop: Header=BB13_36 Depth=4
	s_delay_alu instid0(VALU_DEP_1) | instskip(NEXT) | instid1(VALU_DEP_1)
	v_ashrrev_i32_e32 v22, 31, v21
	v_lshlrev_b64 v[21:22], 3, v[21:22]
	s_delay_alu instid0(VALU_DEP_1) | instskip(NEXT) | instid1(VALU_DEP_2)
	v_add_co_u32 v21, vcc_lo, s8, v21
	v_add_co_ci_u32_e32 v22, vcc_lo, s9, v22, vcc_lo
	s_and_b32 vcc_lo, exec_lo, s27
	global_load_b64 v[23:24], v[21:22], off
	s_cbranch_vccz .LBB13_46
; %bb.43:                               ;   in Loop: Header=BB13_36 Depth=4
	v_mad_u64_u32 v[21:22], null, v37, s14, v[11:12]
	s_cbranch_execnz .LBB13_35
	s_branch .LBB13_34
.LBB13_44:                              ;   in Loop: Header=BB13_36 Depth=4
                                        ; implicit-def: $vgpr19
	s_branch .LBB13_38
.LBB13_45:                              ;   in Loop: Header=BB13_36 Depth=4
                                        ; implicit-def: $vgpr21
	v_add_nc_u32_e32 v38, v35, v36
	s_branch .LBB13_41
.LBB13_46:                              ;   in Loop: Header=BB13_36 Depth=4
                                        ; implicit-def: $vgpr21
	s_branch .LBB13_34
.LBB13_47:                              ;   in Loop: Header=BB13_26 Depth=3
                                        ; implicit-def: $vgpr17
	v_add_nc_u32_e32 v21, v11, v28
	s_branch .LBB13_28
.LBB13_48:                              ;   in Loop: Header=BB13_26 Depth=3
                                        ; implicit-def: $vgpr19
	s_branch .LBB13_31
.LBB13_49:                              ;   in Loop: Header=BB13_13 Depth=1
	s_or_b32 exec_lo, exec_lo, s39
.LBB13_50:                              ;   in Loop: Header=BB13_13 Depth=1
	v_subrev_nc_u32_e32 v11, s24, v30
	v_add_nc_u32_e32 v15, 1, v29
	s_mov_b32 s4, exec_lo
	s_delay_alu instid0(VALU_DEP_1)
	v_cmpx_lt_i32_e64 v15, v11
	s_cbranch_execz .LBB13_11
; %bb.51:                               ;   in Loop: Header=BB13_13 Depth=1
	v_mul_lo_u32 v22, s33, v15
	s_mov_b32 s5, 0
	s_branch .LBB13_54
.LBB13_52:                              ;   in Loop: Header=BB13_54 Depth=2
	s_or_b32 exec_lo, exec_lo, s39
.LBB13_53:                              ;   in Loop: Header=BB13_54 Depth=2
	v_add_nc_u32_e32 v15, 1, v15
	v_add_nc_u32_e32 v22, s33, v22
	s_delay_alu instid0(VALU_DEP_2) | instskip(SKIP_1) | instid1(SALU_CYCLE_1)
	v_cmp_ge_i32_e32 vcc_lo, v15, v11
	s_or_b32 s5, vcc_lo, s5
	s_and_not1_b32 exec_lo, exec_lo, s5
	s_cbranch_execz .LBB13_11
.LBB13_54:                              ;   Parent Loop BB13_13 Depth=1
                                        ; =>  This Loop Header: Depth=2
                                        ;       Child Loop BB13_59 Depth 3
                                        ;       Child Loop BB13_66 Depth 3
                                        ;         Child Loop BB13_69 Depth 4
                                        ;           Child Loop BB13_71 Depth 5
	v_ashrrev_i32_e32 v16, 31, v15
	s_delay_alu instid0(VALU_DEP_1) | instskip(NEXT) | instid1(VALU_DEP_1)
	v_lshlrev_b64 v[16:17], 2, v[15:16]
	v_add_co_u32 v16, vcc_lo, s6, v16
	s_delay_alu instid0(VALU_DEP_2)
	v_add_co_ci_u32_e32 v17, vcc_lo, s7, v17, vcc_lo
	s_waitcnt lgkmcnt(0)
	global_load_b32 v7, v[16:17], off
	v_mov_b32_e32 v17, s21
	s_and_saveexec_b32 s39, s2
	s_cbranch_execz .LBB13_56
; %bb.55:                               ;   in Loop: Header=BB13_54 Depth=2
	global_load_b32 v16, v[13:14], off
	s_waitcnt vmcnt(0)
	v_subrev_nc_u32_e32 v17, s24, v16
.LBB13_56:                              ;   in Loop: Header=BB13_54 Depth=2
	s_or_b32 exec_lo, exec_lo, s39
	s_waitcnt vmcnt(0)
	v_subrev_nc_u32_e32 v7, s24, v7
	v_mov_b32_e32 v18, v12
	s_mov_b32 s39, exec_lo
	s_delay_alu instid0(VALU_DEP_2)
	v_cmpx_lt_i32_e64 v17, v7
	s_cbranch_execz .LBB13_62
; %bb.57:                               ;   in Loop: Header=BB13_54 Depth=2
	v_mov_b32_e32 v16, v12
	s_mov_b32 s40, 0
	s_branch .LBB13_59
	.p2align	6
.LBB13_58:                              ;   in Loop: Header=BB13_59 Depth=3
	s_or_b32 exec_lo, exec_lo, s41
	s_delay_alu instid0(VALU_DEP_1) | instskip(SKIP_2) | instid1(SALU_CYCLE_1)
	v_cmp_ge_i32_e32 vcc_lo, v17, v7
	v_mov_b32_e32 v16, v18
	s_or_b32 s40, vcc_lo, s40
	s_and_not1_b32 exec_lo, exec_lo, s40
	s_cbranch_execz .LBB13_61
.LBB13_59:                              ;   Parent Loop BB13_13 Depth=1
                                        ;     Parent Loop BB13_54 Depth=2
                                        ; =>    This Inner Loop Header: Depth=3
	s_delay_alu instid0(VALU_DEP_1) | instskip(SKIP_1) | instid1(VALU_DEP_1)
	v_dual_mov_b32 v17, s21 :: v_dual_add_nc_u32 v18, 64, v16
	s_mov_b32 s41, exec_lo
	v_cmpx_lt_i32_e64 v18, v25
	s_cbranch_execz .LBB13_58
; %bb.60:                               ;   in Loop: Header=BB13_59 Depth=3
	v_ashrrev_i32_e32 v17, 31, v16
	s_delay_alu instid0(VALU_DEP_1) | instskip(NEXT) | instid1(VALU_DEP_1)
	v_lshlrev_b64 v[16:17], 2, v[16:17]
	v_add_co_u32 v16, vcc_lo, s30, v16
	s_delay_alu instid0(VALU_DEP_2)
	v_add_co_ci_u32_e32 v17, vcc_lo, s31, v17, vcc_lo
	global_load_b32 v16, v[16:17], off
	s_waitcnt vmcnt(0)
	v_subrev_nc_u32_e32 v17, s24, v16
	s_branch .LBB13_58
.LBB13_61:                              ;   in Loop: Header=BB13_54 Depth=2
	s_or_b32 exec_lo, exec_lo, s40
.LBB13_62:                              ;   in Loop: Header=BB13_54 Depth=2
	s_delay_alu instid0(SALU_CYCLE_1)
	s_or_b32 exec_lo, exec_lo, s39
	v_cmp_eq_u32_e32 vcc_lo, v17, v7
	s_cbranch_vccz .LBB13_53
; %bb.63:                               ;   in Loop: Header=BB13_54 Depth=2
	s_ctz_i32_b32 s39, vcc_lo
	s_delay_alu instid0(SALU_CYCLE_1) | instskip(NEXT) | instid1(SALU_CYCLE_1)
	s_lshl_b32 s39, s39, 2
	v_mov_b32_e32 v7, s39
	ds_bpermute_b32 v7, v7, v18
	s_and_saveexec_b32 s39, s0
	s_cbranch_execz .LBB13_52
; %bb.64:                               ;   in Loop: Header=BB13_54 Depth=2
	v_mul_lo_u32 v23, v15, s14
	s_waitcnt lgkmcnt(0)
	v_mul_lo_u32 v24, v7, s14
	v_mov_b32_e32 v29, v27
	v_mov_b32_e32 v7, v0
	s_mov_b32 s40, 0
	s_branch .LBB13_66
.LBB13_65:                              ;   in Loop: Header=BB13_66 Depth=3
	v_add_nc_u32_e32 v7, 64, v7
	v_add_nc_u32_e32 v29, s34, v29
	s_delay_alu instid0(VALU_DEP_2) | instskip(SKIP_1) | instid1(SALU_CYCLE_1)
	v_cmp_le_i32_e32 vcc_lo, s14, v7
	s_or_b32 s40, vcc_lo, s40
	s_and_not1_b32 exec_lo, exec_lo, s40
	s_cbranch_execz .LBB13_52
.LBB13_66:                              ;   Parent Loop BB13_13 Depth=1
                                        ;     Parent Loop BB13_54 Depth=2
                                        ; =>    This Loop Header: Depth=3
                                        ;         Child Loop BB13_69 Depth 4
                                        ;           Child Loop BB13_71 Depth 5
	s_delay_alu instid0(VALU_DEP_1) | instskip(SKIP_1) | instid1(VALU_DEP_1)
	v_dual_mov_b32 v31, v22 :: v_dual_add_nc_u32 v16, v7, v24
	s_mov_b32 s41, 0
	v_mul_lo_u32 v30, v16, s14
	s_branch .LBB13_69
.LBB13_67:                              ;   in Loop: Header=BB13_69 Depth=4
	v_add_nc_u32_e32 v18, s41, v30
.LBB13_68:                              ;   in Loop: Header=BB13_69 Depth=4
	s_delay_alu instid0(VALU_DEP_1) | instskip(SKIP_2) | instid1(SALU_CYCLE_1)
	v_ashrrev_i32_e32 v19, 31, v18
	v_add_nc_u32_e32 v31, 1, v31
	s_add_i32 s41, s41, 1
	s_cmp_eq_u32 s41, s14
	s_delay_alu instid0(VALU_DEP_2) | instskip(NEXT) | instid1(VALU_DEP_1)
	v_lshlrev_b64 v[18:19], 3, v[18:19]
	v_add_co_u32 v18, vcc_lo, s8, v18
	s_delay_alu instid0(VALU_DEP_2)
	v_add_co_ci_u32_e32 v19, vcc_lo, s9, v19, vcc_lo
	global_load_b64 v[20:21], v[18:19], off
	s_waitcnt vmcnt(0)
	v_add_f64 v[16:17], v[20:21], -v[16:17]
	global_store_b64 v[18:19], v[16:17], off
	s_cbranch_scc1 .LBB13_65
.LBB13_69:                              ;   Parent Loop BB13_13 Depth=1
                                        ;     Parent Loop BB13_54 Depth=2
                                        ;       Parent Loop BB13_66 Depth=3
                                        ; =>      This Loop Header: Depth=4
                                        ;           Child Loop BB13_71 Depth 5
	s_delay_alu instid0(VALU_DEP_2) | instskip(SKIP_1) | instid1(VALU_DEP_1)
	v_dual_mov_b32 v33, v31 :: v_dual_add_nc_u32 v16, s41, v23
	s_mov_b32 s42, 0
	v_mul_lo_u32 v32, v16, s14
	v_mov_b32_e32 v16, 0
	v_mov_b32_e32 v17, 0
	s_set_inst_prefetch_distance 0x1
	s_branch .LBB13_71
	.p2align	6
.LBB13_70:                              ;   in Loop: Header=BB13_71 Depth=5
	s_delay_alu instid0(VALU_DEP_1) | instskip(SKIP_2) | instid1(SALU_CYCLE_1)
	v_ashrrev_i32_e32 v21, 31, v20
	v_add_nc_u32_e32 v33, s14, v33
	s_add_i32 s42, s42, 1
	s_cmp_eq_u32 s14, s42
	s_delay_alu instid0(VALU_DEP_2) | instskip(NEXT) | instid1(VALU_DEP_1)
	v_lshlrev_b64 v[20:21], 3, v[20:21]
	v_add_co_u32 v20, vcc_lo, s8, v20
	s_delay_alu instid0(VALU_DEP_2)
	v_add_co_ci_u32_e32 v21, vcc_lo, s9, v21, vcc_lo
	global_load_b64 v[20:21], v[20:21], off
	s_waitcnt vmcnt(0)
	v_fma_f64 v[16:17], v[18:19], v[20:21], v[16:17]
	s_cbranch_scc1 .LBB13_77
.LBB13_71:                              ;   Parent Loop BB13_13 Depth=1
                                        ;     Parent Loop BB13_54 Depth=2
                                        ;       Parent Loop BB13_66 Depth=3
                                        ;         Parent Loop BB13_69 Depth=4
                                        ; =>        This Inner Loop Header: Depth=5
	s_and_b32 vcc_lo, exec_lo, s27
	s_cbranch_vccz .LBB13_76
; %bb.72:                               ;   in Loop: Header=BB13_71 Depth=5
	v_add_nc_u32_e32 v20, s42, v28
	s_delay_alu instid0(VALU_DEP_1)
	v_mad_u64_u32 v[18:19], null, v20, s14, v[7:8]
	s_cbranch_execnz .LBB13_74
.LBB13_73:                              ;   in Loop: Header=BB13_71 Depth=5
	v_add_nc_u32_e32 v18, s42, v29
.LBB13_74:                              ;   in Loop: Header=BB13_71 Depth=5
	s_delay_alu instid0(VALU_DEP_1) | instskip(SKIP_1) | instid1(VALU_DEP_2)
	v_ashrrev_i32_e32 v19, 31, v18
	v_mov_b32_e32 v20, v33
	v_lshlrev_b64 v[18:19], 3, v[18:19]
	s_delay_alu instid0(VALU_DEP_1) | instskip(NEXT) | instid1(VALU_DEP_2)
	v_add_co_u32 v18, vcc_lo, s8, v18
	v_add_co_ci_u32_e32 v19, vcc_lo, s9, v19, vcc_lo
	s_and_not1_b32 vcc_lo, exec_lo, s27
	global_load_b64 v[18:19], v[18:19], off
	s_cbranch_vccnz .LBB13_70
; %bb.75:                               ;   in Loop: Header=BB13_71 Depth=5
	v_add_nc_u32_e32 v20, s42, v32
	s_branch .LBB13_70
	.p2align	6
.LBB13_76:                              ;   in Loop: Header=BB13_71 Depth=5
                                        ; implicit-def: $vgpr18
	s_branch .LBB13_73
.LBB13_77:                              ;   in Loop: Header=BB13_69 Depth=4
	s_set_inst_prefetch_distance 0x2
	s_and_b32 vcc_lo, exec_lo, s27
	s_cbranch_vccz .LBB13_79
; %bb.78:                               ;   in Loop: Header=BB13_69 Depth=4
	v_add_nc_u32_e32 v20, s41, v24
	s_delay_alu instid0(VALU_DEP_1)
	v_mad_u64_u32 v[18:19], null, v20, s14, v[7:8]
	s_cbranch_execnz .LBB13_68
	s_branch .LBB13_67
.LBB13_79:                              ;   in Loop: Header=BB13_69 Depth=4
                                        ; implicit-def: $vgpr18
	s_branch .LBB13_67
.LBB13_80:
	s_or_b32 exec_lo, exec_lo, s35
	s_delay_alu instid0(SALU_CYCLE_1)
	s_and_b32 s3, s36, exec_lo
.LBB13_81:
	s_or_b32 exec_lo, exec_lo, s22
	s_waitcnt lgkmcnt(0)
	v_ashrrev_i32_e32 v7, 31, v6
	s_cmp_gt_i32 s14, 0
	s_cselect_b32 s4, -1, 0
	s_delay_alu instid0(VALU_DEP_1) | instskip(NEXT) | instid1(VALU_DEP_1)
	v_lshlrev_b64 v[10:11], 2, v[6:7]
	v_add_co_u32 v10, vcc_lo, s6, v10
	s_delay_alu instid0(VALU_DEP_2) | instskip(SKIP_4) | instid1(VALU_DEP_1)
	v_add_co_ci_u32_e32 v11, vcc_lo, s7, v11, vcc_lo
	s_mov_b32 s6, 0
	global_load_b32 v7, v[10:11], off
	s_waitcnt vmcnt(0)
	v_subrev_nc_u32_e32 v7, s24, v7
	v_cmp_eq_u32_e32 vcc_lo, v7, v1
	s_and_b32 s0, s4, vcc_lo
	s_delay_alu instid0(SALU_CYCLE_1)
	s_and_saveexec_b32 s5, s0
	s_cbranch_execz .LBB13_121
; %bb.82:
	v_cvt_f64_f32_e32 v[10:11], v26
	v_mul_lo_u32 v21, v6, s14
	s_cmp_eq_u64 s[16:17], 8
	v_cmp_eq_u32_e64 s0, 0, v0
	s_cselect_b32 vcc_lo, -1, 0
	v_mov_b32_e32 v7, 0
	s_cmp_lg_u32 s20, 0
	s_mov_b32 s16, s3
	s_cselect_b32 s7, -1, 0
	v_add3_u32 v22, v21, v0, 1
	s_lshl_b32 s10, s14, 6
                                        ; implicit-def: $sgpr11
	v_dual_cndmask_b32 v8, v10, v8 :: v_dual_cndmask_b32 v9, v11, v9
	s_branch .LBB13_84
.LBB13_83:                              ;   in Loop: Header=BB13_84 Depth=1
	s_or_b32 exec_lo, exec_lo, s1
	s_delay_alu instid0(VALU_DEP_1) | instskip(SKIP_4) | instid1(SALU_CYCLE_1)
	v_cmp_eq_u32_e32 vcc_lo, s14, v24
	v_mov_b32_e32 v7, v24
	s_or_b32 s6, vcc_lo, s6
	s_and_not1_b32 s1, s11, exec_lo
	s_and_b32 s2, s16, exec_lo
	s_or_b32 s11, s1, s2
	s_and_not1_b32 exec_lo, exec_lo, s6
	s_cbranch_execz .LBB13_120
.LBB13_84:                              ; =>This Loop Header: Depth=1
                                        ;     Child Loop BB13_94 Depth 2
                                        ;       Child Loop BB13_104 Depth 3
	v_add_nc_u32_e32 v10, v7, v21
	s_mov_b32 s17, 0
	s_delay_alu instid0(VALU_DEP_1) | instskip(NEXT) | instid1(VALU_DEP_1)
	v_mul_lo_u32 v23, v10, s14
	v_add_nc_u32_e32 v10, v23, v7
	s_delay_alu instid0(VALU_DEP_1) | instskip(NEXT) | instid1(VALU_DEP_1)
	v_ashrrev_i32_e32 v11, 31, v10
	v_lshlrev_b64 v[10:11], 3, v[10:11]
	s_delay_alu instid0(VALU_DEP_1) | instskip(NEXT) | instid1(VALU_DEP_2)
	v_add_co_u32 v14, vcc_lo, s8, v10
	v_add_co_ci_u32_e32 v15, vcc_lo, s9, v11, vcc_lo
	s_and_not1_b32 vcc_lo, exec_lo, s26
	global_load_b64 v[10:11], v[14:15], off
	s_cbranch_vccnz .LBB13_89
; %bb.85:                               ;   in Loop: Header=BB13_84 Depth=1
	s_waitcnt vmcnt(0)
	v_cmp_gt_f64_e32 vcc_lo, 0, v[10:11]
	v_xor_b32_e32 v12, 0x80000000, v11
	s_delay_alu instid0(VALU_DEP_1) | instskip(NEXT) | instid1(VALU_DEP_1)
	v_dual_cndmask_b32 v13, v11, v12 :: v_dual_cndmask_b32 v12, v10, v10
	v_cmp_le_f64_e32 vcc_lo, v[12:13], v[8:9]
	v_dual_cndmask_b32 v13, v11, v5 :: v_dual_cndmask_b32 v12, v10, v4
	s_and_saveexec_b32 s1, s0
	s_cbranch_execz .LBB13_87
; %bb.86:                               ;   in Loop: Header=BB13_84 Depth=1
	global_store_b64 v[14:15], v[12:13], off
.LBB13_87:                              ;   in Loop: Header=BB13_84 Depth=1
	s_or_b32 exec_lo, exec_lo, s1
	s_mov_b32 s1, -1
	s_cbranch_execz .LBB13_90
; %bb.88:                               ;   in Loop: Header=BB13_84 Depth=1
	s_waitcnt vmcnt(0)
	v_dual_mov_b32 v10, v12 :: v_dual_mov_b32 v11, v13
                                        ; implicit-def: $sgpr2
                                        ; implicit-def: $vgpr24
	s_and_saveexec_b32 s21, s1
	s_delay_alu instid0(SALU_CYCLE_1)
	s_xor_b32 s21, exec_lo, s21
	s_cbranch_execz .LBB13_118
	s_branch .LBB13_91
.LBB13_89:                              ;   in Loop: Header=BB13_84 Depth=1
	s_mov_b32 s1, 0
                                        ; implicit-def: $vgpr12_vgpr13
.LBB13_90:                              ;   in Loop: Header=BB13_84 Depth=1
	s_waitcnt vmcnt(0)
	v_cmp_neq_f64_e32 vcc_lo, 0, v[10:11]
	s_and_not1_b32 s1, s1, exec_lo
	s_mov_b32 s17, -1
	s_and_b32 s2, vcc_lo, exec_lo
	s_delay_alu instid0(SALU_CYCLE_1) | instskip(NEXT) | instid1(SALU_CYCLE_1)
	s_or_b32 s1, s1, s2
                                        ; implicit-def: $sgpr2
                                        ; implicit-def: $vgpr24
	s_and_saveexec_b32 s21, s1
	s_delay_alu instid0(SALU_CYCLE_1)
	s_xor_b32 s21, exec_lo, s21
	s_cbranch_execz .LBB13_118
.LBB13_91:                              ;   in Loop: Header=BB13_84 Depth=1
	v_add_nc_u32_e32 v24, 1, v7
	s_mov_b32 s22, exec_lo
	s_delay_alu instid0(VALU_DEP_1) | instskip(NEXT) | instid1(VALU_DEP_1)
	v_add_nc_u32_e32 v12, v24, v0
	v_cmpx_gt_i32_e64 s14, v12
	s_cbranch_execz .LBB13_117
; %bb.92:                               ;   in Loop: Header=BB13_84 Depth=1
	v_add_nc_u32_e32 v13, v22, v7
	v_cmp_gt_i32_e64 s1, s14, v24
	s_mov_b32 s23, 0
	s_delay_alu instid0(VALU_DEP_2)
	v_mul_lo_u32 v26, s14, v13
	s_branch .LBB13_94
.LBB13_93:                              ;   in Loop: Header=BB13_94 Depth=2
	s_or_b32 exec_lo, exec_lo, s25
	v_add_nc_u32_e32 v12, 64, v12
	v_add_nc_u32_e32 v26, s10, v26
	s_delay_alu instid0(VALU_DEP_2) | instskip(SKIP_1) | instid1(SALU_CYCLE_1)
	v_cmp_le_i32_e32 vcc_lo, s14, v12
	s_or_b32 s23, vcc_lo, s23
	s_and_not1_b32 exec_lo, exec_lo, s23
	s_cbranch_execz .LBB13_117
.LBB13_94:                              ;   Parent Loop BB13_84 Depth=1
                                        ; =>  This Loop Header: Depth=2
                                        ;       Child Loop BB13_104 Depth 3
	v_add_nc_u32_e32 v15, v12, v23
	s_and_b32 vcc_lo, exec_lo, s7
	s_cbranch_vccz .LBB13_115
; %bb.95:                               ;   in Loop: Header=BB13_94 Depth=2
	v_add_nc_u32_e32 v13, v12, v23
	s_cbranch_execnz .LBB13_97
.LBB13_96:                              ;   in Loop: Header=BB13_94 Depth=2
	v_add_nc_u32_e32 v16, v12, v21
	s_delay_alu instid0(VALU_DEP_1)
	v_mad_u64_u32 v[13:14], null, v16, s14, v[7:8]
.LBB13_97:                              ;   in Loop: Header=BB13_94 Depth=2
	s_delay_alu instid0(VALU_DEP_1) | instskip(NEXT) | instid1(VALU_DEP_1)
	v_ashrrev_i32_e32 v14, 31, v13
	v_lshlrev_b64 v[13:14], 3, v[13:14]
	s_delay_alu instid0(VALU_DEP_1) | instskip(NEXT) | instid1(VALU_DEP_2)
	v_add_co_u32 v13, vcc_lo, s8, v13
	v_add_co_ci_u32_e32 v14, vcc_lo, s9, v14, vcc_lo
	s_and_b32 vcc_lo, exec_lo, s7
	global_load_b64 v[13:14], v[13:14], off
	s_cbranch_vccz .LBB13_116
; %bb.98:                               ;   in Loop: Header=BB13_94 Depth=2
	s_cbranch_execnz .LBB13_100
.LBB13_99:                              ;   in Loop: Header=BB13_94 Depth=2
	v_add_nc_u32_e32 v17, v12, v21
	s_delay_alu instid0(VALU_DEP_1)
	v_mad_u64_u32 v[15:16], null, v17, s14, v[7:8]
.LBB13_100:                             ;   in Loop: Header=BB13_94 Depth=2
	s_waitcnt vmcnt(0)
	v_div_scale_f64 v[16:17], null, v[10:11], v[10:11], v[13:14]
	s_delay_alu instid0(VALU_DEP_1) | instskip(SKIP_2) | instid1(VALU_DEP_1)
	v_rcp_f64_e32 v[18:19], v[16:17]
	s_waitcnt_depctr 0xfff
	v_fma_f64 v[27:28], -v[16:17], v[18:19], 1.0
	v_fma_f64 v[18:19], v[18:19], v[27:28], v[18:19]
	s_delay_alu instid0(VALU_DEP_1) | instskip(NEXT) | instid1(VALU_DEP_1)
	v_fma_f64 v[27:28], -v[16:17], v[18:19], 1.0
	v_fma_f64 v[18:19], v[18:19], v[27:28], v[18:19]
	v_div_scale_f64 v[27:28], vcc_lo, v[13:14], v[10:11], v[13:14]
	s_delay_alu instid0(VALU_DEP_1) | instskip(NEXT) | instid1(VALU_DEP_1)
	v_mul_f64 v[29:30], v[27:28], v[18:19]
	v_fma_f64 v[16:17], -v[16:17], v[29:30], v[27:28]
	s_delay_alu instid0(VALU_DEP_1) | instskip(NEXT) | instid1(VALU_DEP_1)
	v_div_fmas_f64 v[16:17], v[16:17], v[18:19], v[29:30]
	v_div_fixup_f64 v[13:14], v[16:17], v[10:11], v[13:14]
	v_ashrrev_i32_e32 v16, 31, v15
	s_delay_alu instid0(VALU_DEP_1) | instskip(NEXT) | instid1(VALU_DEP_1)
	v_lshlrev_b64 v[15:16], 3, v[15:16]
	v_add_co_u32 v15, vcc_lo, s8, v15
	s_delay_alu instid0(VALU_DEP_2)
	v_add_co_ci_u32_e32 v16, vcc_lo, s9, v16, vcc_lo
	global_store_b64 v[15:16], v[13:14], off
	s_and_saveexec_b32 s25, s1
	s_cbranch_execz .LBB13_93
; %bb.101:                              ;   in Loop: Header=BB13_94 Depth=2
	v_mov_b32_e32 v27, v24
	s_mov_b32 s27, 0
	s_branch .LBB13_104
.LBB13_102:                             ;   in Loop: Header=BB13_104 Depth=3
	v_add_nc_u32_e32 v17, v26, v27
.LBB13_103:                             ;   in Loop: Header=BB13_104 Depth=3
	s_waitcnt vmcnt(0)
	v_fma_f64 v[15:16], -v[13:14], v[15:16], v[19:20]
	s_delay_alu instid0(VALU_DEP_2) | instskip(SKIP_1) | instid1(VALU_DEP_2)
	v_ashrrev_i32_e32 v18, 31, v17
	v_add_nc_u32_e32 v27, 1, v27
	v_lshlrev_b64 v[17:18], 3, v[17:18]
	s_delay_alu instid0(VALU_DEP_2) | instskip(SKIP_1) | instid1(VALU_DEP_2)
	v_cmp_le_i32_e32 vcc_lo, s14, v27
	s_or_b32 s27, vcc_lo, s27
	v_add_co_u32 v17, s2, s8, v17
	s_delay_alu instid0(VALU_DEP_1)
	v_add_co_ci_u32_e64 v18, s2, s9, v18, s2
	global_store_b64 v[17:18], v[15:16], off
	s_and_not1_b32 exec_lo, exec_lo, s27
	s_cbranch_execz .LBB13_93
.LBB13_104:                             ;   Parent Loop BB13_84 Depth=1
                                        ;     Parent Loop BB13_94 Depth=2
                                        ; =>    This Inner Loop Header: Depth=3
	s_delay_alu instid0(VALU_DEP_1)
	v_add_nc_u32_e32 v28, v27, v21
	s_and_b32 vcc_lo, exec_lo, s7
	s_cbranch_vccz .LBB13_112
; %bb.105:                              ;   in Loop: Header=BB13_104 Depth=3
	s_delay_alu instid0(VALU_DEP_1)
	v_mad_u64_u32 v[15:16], null, v28, s14, v[7:8]
	s_cbranch_execnz .LBB13_107
.LBB13_106:                             ;   in Loop: Header=BB13_104 Depth=3
	v_add_nc_u32_e32 v15, v23, v27
.LBB13_107:                             ;   in Loop: Header=BB13_104 Depth=3
	s_delay_alu instid0(VALU_DEP_1) | instskip(NEXT) | instid1(VALU_DEP_1)
	v_ashrrev_i32_e32 v16, 31, v15
	v_lshlrev_b64 v[15:16], 3, v[15:16]
	s_delay_alu instid0(VALU_DEP_1) | instskip(NEXT) | instid1(VALU_DEP_2)
	v_add_co_u32 v15, vcc_lo, s8, v15
	v_add_co_ci_u32_e32 v16, vcc_lo, s9, v16, vcc_lo
	s_and_b32 vcc_lo, exec_lo, s7
	global_load_b64 v[15:16], v[15:16], off
	s_cbranch_vccz .LBB13_113
; %bb.108:                              ;   in Loop: Header=BB13_104 Depth=3
	v_mad_u64_u32 v[17:18], null, v28, s14, v[12:13]
	s_cbranch_execnz .LBB13_110
.LBB13_109:                             ;   in Loop: Header=BB13_104 Depth=3
	v_add_nc_u32_e32 v17, v26, v27
.LBB13_110:                             ;   in Loop: Header=BB13_104 Depth=3
	s_delay_alu instid0(VALU_DEP_1) | instskip(NEXT) | instid1(VALU_DEP_1)
	v_ashrrev_i32_e32 v18, 31, v17
	v_lshlrev_b64 v[17:18], 3, v[17:18]
	s_delay_alu instid0(VALU_DEP_1) | instskip(NEXT) | instid1(VALU_DEP_2)
	v_add_co_u32 v17, vcc_lo, s8, v17
	v_add_co_ci_u32_e32 v18, vcc_lo, s9, v18, vcc_lo
	s_and_b32 vcc_lo, exec_lo, s7
	global_load_b64 v[19:20], v[17:18], off
	s_cbranch_vccz .LBB13_114
; %bb.111:                              ;   in Loop: Header=BB13_104 Depth=3
	v_mad_u64_u32 v[17:18], null, v28, s14, v[12:13]
	s_cbranch_execnz .LBB13_103
	s_branch .LBB13_102
.LBB13_112:                             ;   in Loop: Header=BB13_104 Depth=3
                                        ; implicit-def: $vgpr15
	s_branch .LBB13_106
.LBB13_113:                             ;   in Loop: Header=BB13_104 Depth=3
                                        ; implicit-def: $vgpr17
	s_branch .LBB13_109
.LBB13_114:                             ;   in Loop: Header=BB13_104 Depth=3
                                        ; implicit-def: $vgpr17
	s_branch .LBB13_102
.LBB13_115:                             ;   in Loop: Header=BB13_94 Depth=2
                                        ; implicit-def: $vgpr13
	s_branch .LBB13_96
.LBB13_116:                             ;   in Loop: Header=BB13_94 Depth=2
                                        ; implicit-def: $vgpr15
	s_branch .LBB13_99
.LBB13_117:                             ;   in Loop: Header=BB13_84 Depth=1
	s_or_b32 exec_lo, exec_lo, s22
	s_delay_alu instid0(SALU_CYCLE_1)
	s_and_b32 s2, s16, exec_lo
	s_and_not1_b32 s17, s17, exec_lo
.LBB13_118:                             ;   in Loop: Header=BB13_84 Depth=1
	s_or_b32 exec_lo, exec_lo, s21
	s_delay_alu instid0(SALU_CYCLE_1) | instskip(SKIP_1) | instid1(SALU_CYCLE_1)
	s_and_not1_b32 s1, s16, exec_lo
	s_and_b32 s2, s2, exec_lo
	s_or_b32 s16, s1, s2
	s_and_saveexec_b32 s1, s17
	s_cbranch_execz .LBB13_83
; %bb.119:                              ;   in Loop: Header=BB13_84 Depth=1
	v_add_nc_u32_e32 v24, 1, v7
	s_or_b32 s16, s16, exec_lo
	s_branch .LBB13_83
.LBB13_120:
	s_or_b32 exec_lo, exec_lo, s6
	s_delay_alu instid0(SALU_CYCLE_1) | instskip(SKIP_1) | instid1(SALU_CYCLE_1)
	s_and_not1_b32 s0, s3, exec_lo
	s_and_b32 s1, s11, exec_lo
	s_or_b32 s3, s0, s1
.LBB13_121:
	s_or_b32 exec_lo, exec_lo, s5
	v_add_nc_u32_e32 v12, 1, v6
	s_mov_b32 s1, exec_lo
	s_delay_alu instid0(VALU_DEP_1)
	v_cmpx_lt_i32_e64 v12, v25
	s_cbranch_execz .LBB13_145
; %bb.122:
	v_mul_lo_u32 v13, v6, s14
	s_mul_i32 s2, s14, s14
	v_cmp_gt_i32_e64 s0, s14, v0
	v_mul_lo_u32 v6, s2, v12
	s_cmp_lg_u32 s20, 0
	s_mov_b32 s5, 0
	s_cselect_b32 s6, -1, 0
	s_add_i32 s7, s14, 1
	v_mad_u64_u32 v[4:5], null, s14, v13, s[14:15]
	s_delay_alu instid0(VALU_DEP_2)
	v_add3_u32 v14, v6, s14, v0
	s_branch .LBB13_124
.LBB13_123:                             ;   in Loop: Header=BB13_124 Depth=1
	v_add_nc_u32_e32 v12, 1, v12
	v_add_nc_u32_e32 v14, s2, v14
	s_delay_alu instid0(VALU_DEP_2) | instskip(SKIP_1) | instid1(SALU_CYCLE_1)
	v_cmp_ge_i32_e32 vcc_lo, v12, v25
	s_or_b32 s5, vcc_lo, s5
	s_and_not1_b32 exec_lo, exec_lo, s5
	s_cbranch_execz .LBB13_145
.LBB13_124:                             ; =>This Loop Header: Depth=1
                                        ;     Child Loop BB13_127 Depth 2
                                        ;       Child Loop BB13_130 Depth 3
                                        ;         Child Loop BB13_134 Depth 4
	s_and_not1_b32 vcc_lo, exec_lo, s4
	s_cbranch_vccnz .LBB13_123
; %bb.125:                              ;   in Loop: Header=BB13_124 Depth=1
	v_mul_lo_u32 v15, v12, s14
	s_delay_alu instid0(VALU_DEP_3)
	v_dual_mov_b32 v16, v14 :: v_dual_mov_b32 v17, v4
	s_mov_b32 s10, 0
	s_branch .LBB13_127
.LBB13_126:                             ;   in Loop: Header=BB13_127 Depth=2
	s_or_b32 exec_lo, exec_lo, s16
	v_add_nc_u32_e32 v17, s7, v17
	v_add_nc_u32_e32 v16, s14, v16
	s_cmp_eq_u32 s11, s14
	s_mov_b32 s10, s11
	s_cbranch_scc1 .LBB13_123
.LBB13_127:                             ;   Parent Loop BB13_124 Depth=1
                                        ; =>  This Loop Header: Depth=2
                                        ;       Child Loop BB13_130 Depth 3
                                        ;         Child Loop BB13_134 Depth 4
	s_add_i32 s11, s10, 1
	s_and_saveexec_b32 s16, s0
	s_cbranch_execz .LBB13_126
; %bb.128:                              ;   in Loop: Header=BB13_127 Depth=2
	v_dual_mov_b32 v20, v16 :: v_dual_add_nc_u32 v5, s10, v13
	v_dual_mov_b32 v21, v0 :: v_dual_add_nc_u32 v6, s10, v15
	s_cmp_lt_i32 s11, s14
	s_delay_alu instid0(VALU_DEP_2) | instskip(SKIP_1) | instid1(VALU_DEP_2)
	v_mul_lo_u32 v18, v5, s14
	s_cselect_b32 s17, -1, 0
	v_mul_lo_u32 v19, v6, s14
	s_mov_b32 s20, 0
	s_branch .LBB13_130
.LBB13_129:                             ;   in Loop: Header=BB13_130 Depth=3
	v_add_nc_u32_e32 v21, 64, v21
	v_add_nc_u32_e32 v20, 64, v20
	s_delay_alu instid0(VALU_DEP_2) | instskip(SKIP_1) | instid1(SALU_CYCLE_1)
	v_cmp_le_i32_e32 vcc_lo, s14, v21
	s_or_b32 s20, vcc_lo, s20
	s_and_not1_b32 exec_lo, exec_lo, s20
	s_cbranch_execz .LBB13_126
.LBB13_130:                             ;   Parent Loop BB13_124 Depth=1
                                        ;     Parent Loop BB13_127 Depth=2
                                        ; =>    This Loop Header: Depth=3
                                        ;         Child Loop BB13_134 Depth 4
	s_and_not1_b32 vcc_lo, exec_lo, s17
	s_cbranch_vccnz .LBB13_129
; %bb.131:                              ;   in Loop: Header=BB13_130 Depth=3
	v_add_nc_u32_e32 v5, v21, v15
	s_delay_alu instid0(VALU_DEP_2) | instskip(SKIP_2) | instid1(VALU_DEP_2)
	v_add_nc_u32_e32 v24, v21, v19
	s_mov_b32 s21, 0
	s_mov_b32 s22, s11
	v_mul_lo_u32 v22, v5, s14
	s_delay_alu instid0(VALU_DEP_1)
	v_add_nc_u32_e32 v23, s10, v22
	s_branch .LBB13_134
.LBB13_132:                             ;   in Loop: Header=BB13_134 Depth=4
	v_mov_b32_e32 v9, v26
.LBB13_133:                             ;   in Loop: Header=BB13_134 Depth=4
	s_waitcnt vmcnt(0)
	v_fma_f64 v[5:6], -v[5:6], v[7:8], v[10:11]
	s_delay_alu instid0(VALU_DEP_2) | instskip(SKIP_3) | instid1(VALU_DEP_1)
	v_ashrrev_i32_e32 v10, 31, v9
	s_add_i32 s22, s22, 1
	s_add_i32 s21, s21, s14
	s_cmp_ge_i32 s22, s14
	v_lshlrev_b64 v[7:8], 3, v[9:10]
	s_delay_alu instid0(VALU_DEP_1) | instskip(NEXT) | instid1(VALU_DEP_2)
	v_add_co_u32 v7, vcc_lo, s8, v7
	v_add_co_ci_u32_e32 v8, vcc_lo, s9, v8, vcc_lo
	global_store_b64 v[7:8], v[5:6], off
	s_cbranch_scc1 .LBB13_129
.LBB13_134:                             ;   Parent Loop BB13_124 Depth=1
                                        ;     Parent Loop BB13_127 Depth=2
                                        ;       Parent Loop BB13_130 Depth=3
                                        ; =>      This Inner Loop Header: Depth=4
	s_and_b32 vcc_lo, exec_lo, s6
	s_cbranch_vccz .LBB13_142
; %bb.135:                              ;   in Loop: Header=BB13_134 Depth=4
	v_add_nc_u32_e32 v5, s22, v18
	v_mov_b32_e32 v7, v23
	s_cbranch_execnz .LBB13_137
.LBB13_136:                             ;   in Loop: Header=BB13_134 Depth=4
	v_add_nc_u32_e32 v5, s21, v17
	v_mov_b32_e32 v7, v24
.LBB13_137:                             ;   in Loop: Header=BB13_134 Depth=4
	s_delay_alu instid0(VALU_DEP_2) | instskip(NEXT) | instid1(VALU_DEP_2)
	v_ashrrev_i32_e32 v6, 31, v5
	v_ashrrev_i32_e32 v8, 31, v7
	v_add_nc_u32_e32 v9, s22, v22
	s_delay_alu instid0(VALU_DEP_3) | instskip(NEXT) | instid1(VALU_DEP_3)
	v_lshlrev_b64 v[5:6], 3, v[5:6]
	v_lshlrev_b64 v[7:8], 3, v[7:8]
	s_delay_alu instid0(VALU_DEP_2) | instskip(NEXT) | instid1(VALU_DEP_3)
	v_add_co_u32 v5, vcc_lo, s8, v5
	v_add_co_ci_u32_e32 v6, vcc_lo, s9, v6, vcc_lo
	s_delay_alu instid0(VALU_DEP_3) | instskip(NEXT) | instid1(VALU_DEP_4)
	v_add_co_u32 v7, vcc_lo, s8, v7
	v_add_co_ci_u32_e32 v8, vcc_lo, s9, v8, vcc_lo
	s_and_b32 vcc_lo, exec_lo, s6
	s_clause 0x1
	global_load_b64 v[5:6], v[5:6], off
	global_load_b64 v[7:8], v[7:8], off
	s_cbranch_vccz .LBB13_143
; %bb.138:                              ;   in Loop: Header=BB13_134 Depth=4
	v_add_nc_u32_e32 v10, s22, v22
	v_add_nc_u32_e32 v26, s21, v20
	s_cbranch_execnz .LBB13_140
.LBB13_139:                             ;   in Loop: Header=BB13_134 Depth=4
	v_add_nc_u32_e32 v10, s21, v20
.LBB13_140:                             ;   in Loop: Header=BB13_134 Depth=4
	s_delay_alu instid0(VALU_DEP_1) | instskip(NEXT) | instid1(VALU_DEP_1)
	v_ashrrev_i32_e32 v11, 31, v10
	v_lshlrev_b64 v[10:11], 3, v[10:11]
	s_delay_alu instid0(VALU_DEP_1) | instskip(NEXT) | instid1(VALU_DEP_2)
	v_add_co_u32 v10, vcc_lo, s8, v10
	v_add_co_ci_u32_e32 v11, vcc_lo, s9, v11, vcc_lo
	s_and_b32 vcc_lo, exec_lo, s6
	global_load_b64 v[10:11], v[10:11], off
	s_cbranch_vccz .LBB13_144
; %bb.141:                              ;   in Loop: Header=BB13_134 Depth=4
	s_cbranch_execnz .LBB13_133
	s_branch .LBB13_132
.LBB13_142:                             ;   in Loop: Header=BB13_134 Depth=4
                                        ; implicit-def: $vgpr5
	s_delay_alu instid0(VALU_DEP_1)
	v_mov_b32_e32 v7, v23
	s_branch .LBB13_136
.LBB13_143:                             ;   in Loop: Header=BB13_134 Depth=4
                                        ; implicit-def: $vgpr10
	v_add_nc_u32_e32 v26, s21, v20
	s_branch .LBB13_139
.LBB13_144:                             ;   in Loop: Header=BB13_134 Depth=4
                                        ; implicit-def: $vgpr9
	s_branch .LBB13_132
.LBB13_145:
	s_or_b32 exec_lo, exec_lo, s1
	s_delay_alu instid0(SALU_CYCLE_1)
	s_or_not1_b32 s2, s3, exec_lo
.LBB13_146:
	s_or_b32 exec_lo, exec_lo, s15
	v_cmp_eq_u32_e32 vcc_lo, 0, v0
	s_and_b32 exec_lo, exec_lo, vcc_lo
	s_cbranch_execz .LBB13_152
; %bb.147:
	v_add_co_u32 v2, vcc_lo, s12, v2
	v_add_co_ci_u32_e32 v3, vcc_lo, s13, v3, vcc_lo
	v_mov_b32_e32 v0, 1
	s_waitcnt_vscnt null, 0x0
	global_store_b32 v[2:3], v0, off
	s_and_b32 exec_lo, exec_lo, s2
	s_cbranch_execz .LBB13_152
; %bb.148:
	v_add_nc_u32_e32 v0, s24, v1
	s_mov_b32 s1, exec_lo
	s_brev_b32 s0, -2
.LBB13_149:                             ; =>This Inner Loop Header: Depth=1
	s_ctz_i32_b32 s2, s1
	s_delay_alu instid0(VALU_DEP_1) | instid1(SALU_CYCLE_1)
	v_readlane_b32 s3, v0, s2
	s_lshl_b32 s2, 1, s2
	s_delay_alu instid0(SALU_CYCLE_1) | instskip(NEXT) | instid1(VALU_DEP_1)
	s_and_not1_b32 s1, s1, s2
	s_min_i32 s0, s0, s3
	s_cmp_lg_u32 s1, 0
	s_cbranch_scc1 .LBB13_149
; %bb.150:
	v_mbcnt_lo_u32_b32 v0, exec_lo, 0
	s_mov_b32 s1, exec_lo
	s_delay_alu instid0(VALU_DEP_1)
	v_cmpx_eq_u32_e32 0, v0
	s_xor_b32 s1, exec_lo, s1
	s_cbranch_execz .LBB13_152
; %bb.151:
	v_dual_mov_b32 v0, 0 :: v_dual_mov_b32 v1, s0
	global_atomic_min_i32 v0, v1, s[18:19]
.LBB13_152:
	s_nop 0
	s_sendmsg sendmsg(MSG_DEALLOC_VGPRS)
	s_endpgm
	.section	.rodata,"a",@progbits
	.p2align	6, 0x0
	.amdhsa_kernel _ZN9rocsparseL15bsrilu0_generalILj128ELj64ELb0EdEEv20rocsparse_direction_iPKiS3_PT2_S3_iPiS3_S6_21rocsparse_index_base_imNS_24const_host_device_scalarIfEENS8_IdEENS8_IS4_EEb
		.amdhsa_group_segment_fixed_size 0
		.amdhsa_private_segment_fixed_size 0
		.amdhsa_kernarg_size 116
		.amdhsa_user_sgpr_count 15
		.amdhsa_user_sgpr_dispatch_ptr 0
		.amdhsa_user_sgpr_queue_ptr 0
		.amdhsa_user_sgpr_kernarg_segment_ptr 1
		.amdhsa_user_sgpr_dispatch_id 0
		.amdhsa_user_sgpr_private_segment_size 0
		.amdhsa_wavefront_size32 1
		.amdhsa_uses_dynamic_stack 0
		.amdhsa_enable_private_segment 0
		.amdhsa_system_sgpr_workgroup_id_x 1
		.amdhsa_system_sgpr_workgroup_id_y 0
		.amdhsa_system_sgpr_workgroup_id_z 0
		.amdhsa_system_sgpr_workgroup_info 0
		.amdhsa_system_vgpr_workitem_id 0
		.amdhsa_next_free_vgpr 40
		.amdhsa_next_free_sgpr 44
		.amdhsa_reserve_vcc 1
		.amdhsa_float_round_mode_32 0
		.amdhsa_float_round_mode_16_64 0
		.amdhsa_float_denorm_mode_32 3
		.amdhsa_float_denorm_mode_16_64 3
		.amdhsa_dx10_clamp 1
		.amdhsa_ieee_mode 1
		.amdhsa_fp16_overflow 0
		.amdhsa_workgroup_processor_mode 1
		.amdhsa_memory_ordered 1
		.amdhsa_forward_progress 0
		.amdhsa_shared_vgpr_count 0
		.amdhsa_exception_fp_ieee_invalid_op 0
		.amdhsa_exception_fp_denorm_src 0
		.amdhsa_exception_fp_ieee_div_zero 0
		.amdhsa_exception_fp_ieee_overflow 0
		.amdhsa_exception_fp_ieee_underflow 0
		.amdhsa_exception_fp_ieee_inexact 0
		.amdhsa_exception_int_div_zero 0
	.end_amdhsa_kernel
	.section	.text._ZN9rocsparseL15bsrilu0_generalILj128ELj64ELb0EdEEv20rocsparse_direction_iPKiS3_PT2_S3_iPiS3_S6_21rocsparse_index_base_imNS_24const_host_device_scalarIfEENS8_IdEENS8_IS4_EEb,"axG",@progbits,_ZN9rocsparseL15bsrilu0_generalILj128ELj64ELb0EdEEv20rocsparse_direction_iPKiS3_PT2_S3_iPiS3_S6_21rocsparse_index_base_imNS_24const_host_device_scalarIfEENS8_IdEENS8_IS4_EEb,comdat
.Lfunc_end13:
	.size	_ZN9rocsparseL15bsrilu0_generalILj128ELj64ELb0EdEEv20rocsparse_direction_iPKiS3_PT2_S3_iPiS3_S6_21rocsparse_index_base_imNS_24const_host_device_scalarIfEENS8_IdEENS8_IS4_EEb, .Lfunc_end13-_ZN9rocsparseL15bsrilu0_generalILj128ELj64ELb0EdEEv20rocsparse_direction_iPKiS3_PT2_S3_iPiS3_S6_21rocsparse_index_base_imNS_24const_host_device_scalarIfEENS8_IdEENS8_IS4_EEb
                                        ; -- End function
	.section	.AMDGPU.csdata,"",@progbits
; Kernel info:
; codeLenInByte = 4368
; NumSgprs: 46
; NumVgprs: 40
; ScratchSize: 0
; MemoryBound: 0
; FloatMode: 240
; IeeeMode: 1
; LDSByteSize: 0 bytes/workgroup (compile time only)
; SGPRBlocks: 5
; VGPRBlocks: 4
; NumSGPRsForWavesPerEU: 46
; NumVGPRsForWavesPerEU: 40
; Occupancy: 16
; WaveLimiterHint : 1
; COMPUTE_PGM_RSRC2:SCRATCH_EN: 0
; COMPUTE_PGM_RSRC2:USER_SGPR: 15
; COMPUTE_PGM_RSRC2:TRAP_HANDLER: 0
; COMPUTE_PGM_RSRC2:TGID_X_EN: 1
; COMPUTE_PGM_RSRC2:TGID_Y_EN: 0
; COMPUTE_PGM_RSRC2:TGID_Z_EN: 0
; COMPUTE_PGM_RSRC2:TIDIG_COMP_CNT: 0
	.section	.text._ZN9rocsparseL15bsrilu0_generalILj128ELj64ELb1E21rocsparse_complex_numIfEEEv20rocsparse_direction_iPKiS5_PT2_S5_iPiS5_S8_21rocsparse_index_base_imNS_24const_host_device_scalarIfEENSA_IdEENSA_IS6_EEb,"axG",@progbits,_ZN9rocsparseL15bsrilu0_generalILj128ELj64ELb1E21rocsparse_complex_numIfEEEv20rocsparse_direction_iPKiS5_PT2_S5_iPiS5_S8_21rocsparse_index_base_imNS_24const_host_device_scalarIfEENSA_IdEENSA_IS6_EEb,comdat
	.globl	_ZN9rocsparseL15bsrilu0_generalILj128ELj64ELb1E21rocsparse_complex_numIfEEEv20rocsparse_direction_iPKiS5_PT2_S5_iPiS5_S8_21rocsparse_index_base_imNS_24const_host_device_scalarIfEENSA_IdEENSA_IS6_EEb ; -- Begin function _ZN9rocsparseL15bsrilu0_generalILj128ELj64ELb1E21rocsparse_complex_numIfEEEv20rocsparse_direction_iPKiS5_PT2_S5_iPiS5_S8_21rocsparse_index_base_imNS_24const_host_device_scalarIfEENSA_IdEENSA_IS6_EEb
	.p2align	8
	.type	_ZN9rocsparseL15bsrilu0_generalILj128ELj64ELb1E21rocsparse_complex_numIfEEEv20rocsparse_direction_iPKiS5_PT2_S5_iPiS5_S8_21rocsparse_index_base_imNS_24const_host_device_scalarIfEENSA_IdEENSA_IS6_EEb,@function
_ZN9rocsparseL15bsrilu0_generalILj128ELj64ELb1E21rocsparse_complex_numIfEEEv20rocsparse_direction_iPKiS5_PT2_S5_iPiS5_S8_21rocsparse_index_base_imNS_24const_host_device_scalarIfEENSA_IdEENSA_IS6_EEb: ; @_ZN9rocsparseL15bsrilu0_generalILj128ELj64ELb1E21rocsparse_complex_numIfEEEv20rocsparse_direction_iPKiS5_PT2_S5_iPiS5_S8_21rocsparse_index_base_imNS_24const_host_device_scalarIfEENSA_IdEENSA_IS6_EEb
; %bb.0:
	s_clause 0x2
	s_load_b32 s2, s[0:1], 0x70
	s_load_b64 s[24:25], s[0:1], 0x48
	s_load_b256 s[16:23], s[0:1], 0x50
	s_waitcnt lgkmcnt(0)
	s_bitcmp1_b32 s2, 0
	s_cselect_b32 s4, -1, 0
	s_cmp_lg_u32 s25, 0
	s_cselect_b32 s5, -1, 0
	s_cmp_eq_u32 s25, 0
	s_cselect_b32 s7, -1, 0
	s_delay_alu instid0(SALU_CYCLE_1) | instskip(SKIP_3) | instid1(SALU_CYCLE_1)
	s_and_b32 s2, s7, exec_lo
	s_cselect_b32 s2, 0, s20
	s_cselect_b32 s3, 0, s21
	s_or_b32 s6, s7, s4
	s_and_b32 vcc_lo, exec_lo, s6
	s_xor_b32 s6, s6, -1
	s_cbranch_vccnz .LBB14_2
; %bb.1:
	s_load_b32 s2, s[18:19], 0x0
	s_waitcnt lgkmcnt(0)
	v_mov_b32_e32 v25, s2
	s_mov_b64 s[2:3], s[20:21]
	s_delay_alu instid0(SALU_CYCLE_1)
	v_dual_mov_b32 v7, s3 :: v_dual_mov_b32 v6, s2
	s_and_not1_b32 vcc_lo, exec_lo, s6
	s_cbranch_vccz .LBB14_3
	s_branch .LBB14_4
.LBB14_2:
	v_cndmask_b32_e64 v25, s18, 0, s7
	v_dual_mov_b32 v7, s3 :: v_dual_mov_b32 v6, s2
	s_and_not1_b32 vcc_lo, exec_lo, s6
	s_cbranch_vccnz .LBB14_4
.LBB14_3:
	v_dual_mov_b32 v1, s20 :: v_dual_mov_b32 v2, s21
	flat_load_b64 v[6:7], v[1:2]
.LBB14_4:
	v_cndmask_b32_e64 v24, 0, 1, s5
	s_mov_b32 s26, 0
	s_and_not1_b32 vcc_lo, exec_lo, s5
	s_mov_b32 s25, s26
	s_cbranch_vccnz .LBB14_10
; %bb.5:
	s_xor_b32 s2, s4, -1
	s_mov_b32 s25, s22
	v_cndmask_b32_e64 v1, 0, 1, s2
	s_and_not1_b32 vcc_lo, exec_lo, s2
	s_cbranch_vccnz .LBB14_7
; %bb.6:
	s_load_b32 s25, s[22:23], 0x0
.LBB14_7:
	s_delay_alu instid0(VALU_DEP_1)
	v_cmp_ne_u32_e32 vcc_lo, 1, v1
	s_cbranch_vccnz .LBB14_9
; %bb.8:
	s_load_b32 s23, s[22:23], 0x4
.LBB14_9:
	s_waitcnt lgkmcnt(0)
	s_mov_b32 s26, s23
.LBB14_10:
	s_load_b64 s[20:21], s[0:1], 0x0
	v_lshrrev_b32_e32 v1, 6, v0
	s_lshl_b32 s2, s15, 1
	s_delay_alu instid0(VALU_DEP_1) | instid1(SALU_CYCLE_1)
	v_and_or_b32 v1, 0x3fffffe, s2, v1
	s_mov_b32 s2, exec_lo
	s_waitcnt lgkmcnt(0)
	s_delay_alu instid0(VALU_DEP_1)
	v_cmpx_gt_i32_e64 s21, v1
	s_cbranch_execz .LBB14_163
; %bb.11:
	s_clause 0x1
	s_load_b128 s[12:15], s[0:1], 0x30
	s_load_b64 s[18:19], s[0:1], 0x40
	v_lshlrev_b32_e32 v1, 2, v1
	s_load_b256 s[4:11], s[0:1], 0x8
	v_and_b32_e32 v0, 63, v0
	s_mov_b32 s2, -1
	s_waitcnt lgkmcnt(0)
	global_load_b32 v1, v1, s[14:15]
	s_mov_b32 s15, exec_lo
	s_waitcnt vmcnt(0)
	v_ashrrev_i32_e32 v2, 31, v1
	s_delay_alu instid0(VALU_DEP_1) | instskip(NEXT) | instid1(VALU_DEP_1)
	v_lshlrev_b64 v[2:3], 2, v[1:2]
	v_add_co_u32 v4, vcc_lo, s10, v2
	s_delay_alu instid0(VALU_DEP_2)
	v_add_co_ci_u32_e32 v5, vcc_lo, s11, v3, vcc_lo
	global_load_b32 v4, v[4:5], off
	s_waitcnt vmcnt(0)
	v_cmpx_ne_u32_e32 -1, v4
	s_cbranch_execz .LBB14_157
; %bb.12:
	v_add_co_u32 v8, vcc_lo, s4, v2
	v_add_co_ci_u32_e32 v9, vcc_lo, s5, v3, vcc_lo
	s_load_b32 s14, s[0:1], 0x28
	s_mov_b32 s3, 0
	s_mov_b32 s22, exec_lo
	global_load_b64 v[8:9], v[8:9], off
	s_waitcnt vmcnt(0)
	v_subrev_nc_u32_e32 v8, s24, v8
	v_subrev_nc_u32_e32 v23, s24, v9
	s_delay_alu instid0(VALU_DEP_2)
	v_cmpx_lt_i32_e64 v8, v4
	s_cbranch_execz .LBB14_86
; %bb.13:
	v_add_nc_u32_e32 v10, v8, v0
	s_waitcnt lgkmcnt(0)
	v_mad_u64_u32 v[13:14], null, s14, v8, v[0:1]
	s_cmp_gt_i32 s14, 0
	v_cmp_gt_i32_e64 s0, s14, v0
	v_ashrrev_i32_e32 v11, 31, v10
	s_cselect_b32 s23, -1, 0
	s_cmp_lg_u32 s20, 0
	v_cmp_le_i32_e64 s1, s14, v0
	s_delay_alu instid0(VALU_DEP_4)
	v_mul_lo_u32 v26, s14, v13
	v_lshlrev_b64 v[11:12], 2, v[10:11]
	s_cselect_b32 s28, -1, 0
	s_add_i32 s21, s21, 1
	v_cmp_lt_i32_e64 s2, v10, v23
	s_add_u32 s29, s4, 4
	s_addc_u32 s30, s5, 0
	v_add_co_u32 v11, vcc_lo, s6, v11
	v_add_co_ci_u32_e32 v12, vcc_lo, s7, v12, vcc_lo
	s_add_u32 s31, s6, 0x100
	s_mov_b32 s27, 0
	s_addc_u32 s33, s7, 0
	s_mul_i32 s34, s14, s14
	s_lshl_b32 s35, s14, 6
	s_mov_b32 s36, 0
                                        ; implicit-def: $sgpr37
                                        ; implicit-def: $sgpr38
	s_branch .LBB14_16
.LBB14_14:                              ;   in Loop: Header=BB14_16 Depth=1
	s_or_b32 exec_lo, exec_lo, s4
	s_delay_alu instid0(SALU_CYCLE_1) | instskip(SKIP_1) | instid1(SALU_CYCLE_1)
	s_and_not1_b32 s4, s38, exec_lo
	s_and_b32 s5, s27, exec_lo
	s_or_b32 s38, s4, s5
.LBB14_15:                              ;   in Loop: Header=BB14_16 Depth=1
	s_or_b32 exec_lo, exec_lo, s39
	v_add_nc_u32_e32 v8, 1, v8
	s_xor_b32 s3, s3, -1
	v_add_nc_u32_e32 v26, s34, v26
	s_mov_b32 s27, s38
	s_delay_alu instid0(VALU_DEP_2) | instskip(SKIP_1) | instid1(SALU_CYCLE_1)
	v_cmp_ge_i32_e32 vcc_lo, v8, v4
	s_or_b32 s3, s3, vcc_lo
	s_and_b32 s3, exec_lo, s3
	s_delay_alu instid0(SALU_CYCLE_1) | instskip(SKIP_2) | instid1(SALU_CYCLE_1)
	s_or_b32 s36, s3, s36
	s_and_not1_b32 s3, s37, exec_lo
	s_and_b32 s4, s38, exec_lo
	s_or_b32 s37, s3, s4
	s_and_not1_b32 exec_lo, exec_lo, s36
	s_cbranch_execz .LBB14_85
.LBB14_16:                              ; =>This Loop Header: Depth=1
                                        ;     Child Loop BB14_20 Depth 2
                                        ;       Child Loop BB14_21 Depth 3
                                        ;     Child Loop BB14_26 Depth 2
                                        ;       Child Loop BB14_31 Depth 3
                                        ;         Child Loop BB14_41 Depth 4
                                        ;     Child Loop BB14_59 Depth 2
                                        ;       Child Loop BB14_64 Depth 3
                                        ;       Child Loop BB14_71 Depth 3
                                        ;         Child Loop BB14_74 Depth 4
                                        ;           Child Loop BB14_76 Depth 5
	v_ashrrev_i32_e32 v9, 31, v8
	s_or_b32 s38, s38, exec_lo
	s_delay_alu instid0(VALU_DEP_1) | instskip(NEXT) | instid1(VALU_DEP_1)
	v_lshlrev_b64 v[13:14], 2, v[8:9]
	v_add_co_u32 v13, vcc_lo, s6, v13
	s_delay_alu instid0(VALU_DEP_2) | instskip(SKIP_4) | instid1(VALU_DEP_1)
	v_add_co_ci_u32_e32 v14, vcc_lo, s7, v14, vcc_lo
	s_waitcnt lgkmcnt(0)
	global_load_b32 v5, v[13:14], off
	s_waitcnt vmcnt(0)
	v_subrev_nc_u32_e32 v13, s24, v5
	v_ashrrev_i32_e32 v14, 31, v13
	s_delay_alu instid0(VALU_DEP_1) | instskip(NEXT) | instid1(VALU_DEP_1)
	v_lshlrev_b64 v[13:14], 2, v[13:14]
	v_add_co_u32 v15, vcc_lo, s10, v13
	s_delay_alu instid0(VALU_DEP_2) | instskip(SKIP_3) | instid1(VALU_DEP_1)
	v_add_co_ci_u32_e32 v16, vcc_lo, s11, v14, vcc_lo
	global_load_b32 v28, v[15:16], off
	s_waitcnt vmcnt(0)
	v_cmp_ne_u32_e64 s3, -1, v28
	s_and_saveexec_b32 s39, s3
	s_cbranch_execz .LBB14_15
; %bb.17:                               ;   in Loop: Header=BB14_16 Depth=1
	v_add_co_u32 v15, vcc_lo, s29, v13
	v_add_co_ci_u32_e32 v16, vcc_lo, s30, v14, vcc_lo
	v_add_co_u32 v13, vcc_lo, s12, v13
	v_add_co_ci_u32_e32 v14, vcc_lo, s13, v14, vcc_lo
	s_mov_b32 s4, exec_lo
	global_load_b32 v29, v[15:16], off
	global_load_b32 v5, v[13:14], off glc
	s_waitcnt vmcnt(0)
	v_cmpx_eq_u32_e32 0, v5
	s_cbranch_execz .LBB14_22
; %bb.18:                               ;   in Loop: Header=BB14_16 Depth=1
	s_mov_b32 s5, 0
	s_mov_b32 s40, 0
	s_branch .LBB14_20
	.p2align	6
.LBB14_19:                              ;   in Loop: Header=BB14_20 Depth=2
	global_load_b32 v5, v[13:14], off glc
	s_cmpk_lt_u32 s40, 0xf43
	s_cselect_b32 s41, -1, 0
	s_delay_alu instid0(SALU_CYCLE_1) | instskip(SKIP_4) | instid1(SALU_CYCLE_1)
	s_cmp_lg_u32 s41, 0
	s_addc_u32 s40, s40, 0
	s_waitcnt vmcnt(0)
	v_cmp_ne_u32_e32 vcc_lo, 0, v5
	s_or_b32 s5, vcc_lo, s5
	s_and_not1_b32 exec_lo, exec_lo, s5
	s_cbranch_execz .LBB14_22
.LBB14_20:                              ;   Parent Loop BB14_16 Depth=1
                                        ; =>  This Loop Header: Depth=2
                                        ;       Child Loop BB14_21 Depth 3
	s_cmp_eq_u32 s40, 0
	s_mov_b32 s41, s40
	s_cbranch_scc1 .LBB14_19
.LBB14_21:                              ;   Parent Loop BB14_16 Depth=1
                                        ;     Parent Loop BB14_20 Depth=2
                                        ; =>    This Inner Loop Header: Depth=3
	s_add_i32 s41, s41, -1
	s_sleep 1
	s_cmp_eq_u32 s41, 0
	s_cbranch_scc0 .LBB14_21
	s_branch .LBB14_19
.LBB14_22:                              ;   in Loop: Header=BB14_16 Depth=1
	s_or_b32 exec_lo, exec_lo, s4
	v_mul_lo_u32 v27, v8, s14
	s_and_not1_b32 vcc_lo, exec_lo, s23
	buffer_gl1_inv
	buffer_gl0_inv
	s_cbranch_vccnz .LBB14_55
; %bb.23:                               ;   in Loop: Header=BB14_16 Depth=1
	v_mul_lo_u32 v30, v28, s14
	v_mov_b32_e32 v5, 0
	s_mov_b32 s40, 0
	s_branch .LBB14_26
.LBB14_24:                              ;   in Loop: Header=BB14_26 Depth=2
	s_or_b32 exec_lo, exec_lo, s42
	v_mov_b32_e32 v5, v31
.LBB14_25:                              ;   in Loop: Header=BB14_26 Depth=2
	s_or_b32 exec_lo, exec_lo, s41
	s_delay_alu instid0(VALU_DEP_1) | instskip(SKIP_1) | instid1(SALU_CYCLE_1)
	v_cmp_eq_u32_e32 vcc_lo, s14, v5
	s_or_b32 s40, vcc_lo, s40
	s_and_not1_b32 exec_lo, exec_lo, s40
	s_cbranch_execz .LBB14_54
.LBB14_26:                              ;   Parent Loop BB14_16 Depth=1
                                        ; =>  This Loop Header: Depth=2
                                        ;       Child Loop BB14_31 Depth 3
                                        ;         Child Loop BB14_41 Depth 4
	s_delay_alu instid0(VALU_DEP_1) | instskip(SKIP_1) | instid1(SALU_CYCLE_1)
	v_add_nc_u32_e32 v31, 1, v5
	s_and_saveexec_b32 s4, s1
	s_xor_b32 s4, exec_lo, s4
; %bb.27:                               ;   in Loop: Header=BB14_26 Depth=2
	v_add_nc_u32_e32 v5, 1, v5
                                        ; implicit-def: $vgpr31
; %bb.28:                               ;   in Loop: Header=BB14_26 Depth=2
	s_and_not1_saveexec_b32 s41, s4
	s_cbranch_execz .LBB14_25
; %bb.29:                               ;   in Loop: Header=BB14_26 Depth=2
	s_delay_alu instid0(VALU_DEP_1) | instskip(SKIP_2) | instid1(VALU_DEP_2)
	v_dual_mov_b32 v34, v26 :: v_dual_add_nc_u32 v9, v5, v30
	v_cmp_gt_i32_e64 s4, s14, v31
	s_mov_b32 s42, 0
	v_mul_lo_u32 v32, v9, s14
	s_delay_alu instid0(VALU_DEP_1) | instskip(NEXT) | instid1(VALU_DEP_1)
	v_add_nc_u32_e32 v13, v32, v5
	v_ashrrev_i32_e32 v14, 31, v13
	s_delay_alu instid0(VALU_DEP_1) | instskip(NEXT) | instid1(VALU_DEP_1)
	v_lshlrev_b64 v[13:14], 3, v[13:14]
	v_add_co_u32 v13, vcc_lo, s8, v13
	s_delay_alu instid0(VALU_DEP_2) | instskip(SKIP_3) | instid1(VALU_DEP_1)
	v_add_co_ci_u32_e32 v14, vcc_lo, s9, v14, vcc_lo
	global_load_b64 v[13:14], v[13:14], off
	s_waitcnt vmcnt(0)
	v_mul_f32_e32 v9, v14, v14
	v_fmac_f32_e32 v9, v13, v13
	s_delay_alu instid0(VALU_DEP_1) | instskip(SKIP_1) | instid1(VALU_DEP_2)
	v_div_scale_f32 v15, null, v9, v9, 1.0
	v_div_scale_f32 v18, vcc_lo, 1.0, v9, 1.0
	v_rcp_f32_e32 v16, v15
	s_waitcnt_depctr 0xfff
	v_fma_f32 v17, -v15, v16, 1.0
	s_delay_alu instid0(VALU_DEP_1) | instskip(NEXT) | instid1(VALU_DEP_1)
	v_fmac_f32_e32 v16, v17, v16
	v_mul_f32_e32 v17, v18, v16
	s_delay_alu instid0(VALU_DEP_1) | instskip(NEXT) | instid1(VALU_DEP_1)
	v_fma_f32 v19, -v15, v17, v18
	v_fmac_f32_e32 v17, v19, v16
	s_delay_alu instid0(VALU_DEP_1) | instskip(SKIP_1) | instid1(VALU_DEP_2)
	v_fma_f32 v15, -v15, v17, v18
	v_add_nc_u32_e32 v18, v5, v27
	v_div_fmas_f32 v15, v15, v16, v17
	s_delay_alu instid0(VALU_DEP_2) | instskip(NEXT) | instid1(VALU_DEP_2)
	v_mul_lo_u32 v33, v18, s14
	v_div_fixup_f32 v35, v15, v9, 1.0
	v_mov_b32_e32 v9, v0
	s_branch .LBB14_31
.LBB14_30:                              ;   in Loop: Header=BB14_31 Depth=3
	s_or_b32 exec_lo, exec_lo, s43
	v_add_nc_u32_e32 v9, 64, v9
	v_add_nc_u32_e32 v34, s35, v34
	s_delay_alu instid0(VALU_DEP_2) | instskip(SKIP_1) | instid1(SALU_CYCLE_1)
	v_cmp_le_i32_e32 vcc_lo, s14, v9
	s_or_b32 s42, vcc_lo, s42
	s_and_not1_b32 exec_lo, exec_lo, s42
	s_cbranch_execz .LBB14_24
.LBB14_31:                              ;   Parent Loop BB14_16 Depth=1
                                        ;     Parent Loop BB14_26 Depth=2
                                        ; =>    This Loop Header: Depth=3
                                        ;         Child Loop BB14_41 Depth 4
	s_delay_alu instid0(VALU_DEP_1)
	v_add_nc_u32_e32 v15, v9, v33
	s_and_b32 vcc_lo, exec_lo, s28
	s_cbranch_vccz .LBB14_52
; %bb.32:                               ;   in Loop: Header=BB14_31 Depth=3
	v_add_nc_u32_e32 v16, v9, v33
	v_add_nc_u32_e32 v19, v9, v27
	s_cbranch_execnz .LBB14_34
.LBB14_33:                              ;   in Loop: Header=BB14_31 Depth=3
	s_delay_alu instid0(VALU_DEP_1)
	v_mad_u64_u32 v[16:17], null, v19, s14, v[5:6]
.LBB14_34:                              ;   in Loop: Header=BB14_31 Depth=3
	s_delay_alu instid0(VALU_DEP_1) | instskip(NEXT) | instid1(VALU_DEP_1)
	v_ashrrev_i32_e32 v17, 31, v16
	v_lshlrev_b64 v[16:17], 3, v[16:17]
	s_delay_alu instid0(VALU_DEP_1) | instskip(NEXT) | instid1(VALU_DEP_2)
	v_add_co_u32 v16, vcc_lo, s8, v16
	v_add_co_ci_u32_e32 v17, vcc_lo, s9, v17, vcc_lo
	s_and_b32 vcc_lo, exec_lo, s28
	global_load_b64 v[17:18], v[16:17], off
	s_cbranch_vccz .LBB14_53
; %bb.35:                               ;   in Loop: Header=BB14_31 Depth=3
	s_cbranch_execnz .LBB14_37
.LBB14_36:                              ;   in Loop: Header=BB14_31 Depth=3
	v_mad_u64_u32 v[15:16], null, v19, s14, v[5:6]
.LBB14_37:                              ;   in Loop: Header=BB14_31 Depth=3
	s_waitcnt vmcnt(0)
	v_mul_f32_e64 v20, v14, -v17
	s_delay_alu instid0(VALU_DEP_2) | instskip(NEXT) | instid1(VALU_DEP_2)
	v_ashrrev_i32_e32 v16, 31, v15
	v_fmac_f32_e32 v20, v18, v13
	v_mul_f32_e32 v19, v14, v18
	s_delay_alu instid0(VALU_DEP_1) | instskip(NEXT) | instid1(VALU_DEP_4)
	v_fmac_f32_e32 v19, v17, v13
	v_lshlrev_b64 v[17:18], 3, v[15:16]
	s_delay_alu instid0(VALU_DEP_2) | instskip(SKIP_1) | instid1(VALU_DEP_3)
	v_mul_f32_e32 v15, v35, v19
	v_mul_f32_e32 v16, v35, v20
	v_add_co_u32 v17, vcc_lo, s8, v17
	s_delay_alu instid0(VALU_DEP_4)
	v_add_co_ci_u32_e32 v18, vcc_lo, s9, v18, vcc_lo
	global_store_b64 v[17:18], v[15:16], off
	s_and_saveexec_b32 s43, s4
	s_cbranch_execz .LBB14_30
; %bb.38:                               ;   in Loop: Header=BB14_31 Depth=3
	v_mov_b32_e32 v36, v31
	s_mov_b32 s44, 0
	s_branch .LBB14_41
.LBB14_39:                              ;   in Loop: Header=BB14_41 Depth=4
	v_mov_b32_e32 v19, v38
.LBB14_40:                              ;   in Loop: Header=BB14_41 Depth=4
	s_delay_alu instid0(VALU_DEP_1)
	v_ashrrev_i32_e32 v20, 31, v19
	s_waitcnt vmcnt(0)
	v_fma_f32 v21, -v15, v17, v21
	v_fma_f32 v17, -v16, v17, v22
	v_add_nc_u32_e32 v36, 1, v36
	v_lshlrev_b64 v[19:20], 3, v[19:20]
	s_delay_alu instid0(VALU_DEP_4) | instskip(NEXT) | instid1(VALU_DEP_4)
	v_fmac_f32_e32 v21, v16, v18
	v_fma_f32 v22, -v15, v18, v17
	s_delay_alu instid0(VALU_DEP_4) | instskip(NEXT) | instid1(VALU_DEP_4)
	v_cmp_le_i32_e32 vcc_lo, s14, v36
	v_add_co_u32 v17, s5, s8, v19
	s_delay_alu instid0(VALU_DEP_1)
	v_add_co_ci_u32_e64 v18, s5, s9, v20, s5
	s_or_b32 s44, vcc_lo, s44
	global_store_b64 v[17:18], v[21:22], off
	s_and_not1_b32 exec_lo, exec_lo, s44
	s_cbranch_execz .LBB14_30
.LBB14_41:                              ;   Parent Loop BB14_16 Depth=1
                                        ;     Parent Loop BB14_26 Depth=2
                                        ;       Parent Loop BB14_31 Depth=3
                                        ; =>      This Inner Loop Header: Depth=4
	s_and_b32 vcc_lo, exec_lo, s28
	s_cbranch_vccz .LBB14_49
; %bb.42:                               ;   in Loop: Header=BB14_41 Depth=4
	v_add_nc_u32_e32 v19, v36, v30
	s_delay_alu instid0(VALU_DEP_1)
	v_mad_u64_u32 v[17:18], null, v19, s14, v[5:6]
	s_cbranch_execnz .LBB14_44
.LBB14_43:                              ;   in Loop: Header=BB14_41 Depth=4
	v_add_nc_u32_e32 v17, v32, v36
.LBB14_44:                              ;   in Loop: Header=BB14_41 Depth=4
	s_delay_alu instid0(VALU_DEP_1) | instskip(SKIP_1) | instid1(VALU_DEP_2)
	v_ashrrev_i32_e32 v18, 31, v17
	v_add_nc_u32_e32 v37, v36, v27
	v_lshlrev_b64 v[17:18], 3, v[17:18]
	s_delay_alu instid0(VALU_DEP_1) | instskip(NEXT) | instid1(VALU_DEP_2)
	v_add_co_u32 v17, vcc_lo, s8, v17
	v_add_co_ci_u32_e32 v18, vcc_lo, s9, v18, vcc_lo
	s_and_b32 vcc_lo, exec_lo, s28
	global_load_b64 v[17:18], v[17:18], off
	s_cbranch_vccz .LBB14_50
; %bb.45:                               ;   in Loop: Header=BB14_41 Depth=4
	v_mad_u64_u32 v[19:20], null, v37, s14, v[9:10]
	v_add_nc_u32_e32 v38, v34, v36
	s_cbranch_execnz .LBB14_47
.LBB14_46:                              ;   in Loop: Header=BB14_41 Depth=4
	v_add_nc_u32_e32 v19, v34, v36
.LBB14_47:                              ;   in Loop: Header=BB14_41 Depth=4
	s_delay_alu instid0(VALU_DEP_1) | instskip(NEXT) | instid1(VALU_DEP_1)
	v_ashrrev_i32_e32 v20, 31, v19
	v_lshlrev_b64 v[19:20], 3, v[19:20]
	s_delay_alu instid0(VALU_DEP_1) | instskip(NEXT) | instid1(VALU_DEP_2)
	v_add_co_u32 v19, vcc_lo, s8, v19
	v_add_co_ci_u32_e32 v20, vcc_lo, s9, v20, vcc_lo
	s_and_b32 vcc_lo, exec_lo, s28
	global_load_b64 v[21:22], v[19:20], off
	s_cbranch_vccz .LBB14_51
; %bb.48:                               ;   in Loop: Header=BB14_41 Depth=4
	v_mad_u64_u32 v[19:20], null, v37, s14, v[9:10]
	s_cbranch_execnz .LBB14_40
	s_branch .LBB14_39
.LBB14_49:                              ;   in Loop: Header=BB14_41 Depth=4
                                        ; implicit-def: $vgpr17
	s_branch .LBB14_43
.LBB14_50:                              ;   in Loop: Header=BB14_41 Depth=4
                                        ; implicit-def: $vgpr19
	v_add_nc_u32_e32 v38, v34, v36
	s_branch .LBB14_46
.LBB14_51:                              ;   in Loop: Header=BB14_41 Depth=4
                                        ; implicit-def: $vgpr19
	s_branch .LBB14_39
.LBB14_52:                              ;   in Loop: Header=BB14_31 Depth=3
                                        ; implicit-def: $vgpr16
	v_add_nc_u32_e32 v19, v9, v27
	s_branch .LBB14_33
.LBB14_53:                              ;   in Loop: Header=BB14_31 Depth=3
                                        ; implicit-def: $vgpr15
	s_branch .LBB14_36
.LBB14_54:                              ;   in Loop: Header=BB14_16 Depth=1
	s_or_b32 exec_lo, exec_lo, s40
.LBB14_55:                              ;   in Loop: Header=BB14_16 Depth=1
	v_subrev_nc_u32_e32 v9, s24, v29
	v_add_nc_u32_e32 v13, 1, v28
	s_mov_b32 s4, exec_lo
	s_delay_alu instid0(VALU_DEP_1)
	v_cmpx_lt_i32_e64 v13, v9
	s_cbranch_execz .LBB14_14
; %bb.56:                               ;   in Loop: Header=BB14_16 Depth=1
	v_mul_lo_u32 v18, s34, v13
	s_mov_b32 s5, 0
	s_branch .LBB14_59
.LBB14_57:                              ;   in Loop: Header=BB14_59 Depth=2
	s_or_b32 exec_lo, exec_lo, s40
.LBB14_58:                              ;   in Loop: Header=BB14_59 Depth=2
	v_add_nc_u32_e32 v13, 1, v13
	v_add_nc_u32_e32 v18, s34, v18
	s_delay_alu instid0(VALU_DEP_2) | instskip(SKIP_1) | instid1(SALU_CYCLE_1)
	v_cmp_ge_i32_e32 vcc_lo, v13, v9
	s_or_b32 s5, vcc_lo, s5
	s_and_not1_b32 exec_lo, exec_lo, s5
	s_cbranch_execz .LBB14_14
.LBB14_59:                              ;   Parent Loop BB14_16 Depth=1
                                        ; =>  This Loop Header: Depth=2
                                        ;       Child Loop BB14_64 Depth 3
                                        ;       Child Loop BB14_71 Depth 3
                                        ;         Child Loop BB14_74 Depth 4
                                        ;           Child Loop BB14_76 Depth 5
	v_ashrrev_i32_e32 v14, 31, v13
	s_delay_alu instid0(VALU_DEP_1) | instskip(NEXT) | instid1(VALU_DEP_1)
	v_lshlrev_b64 v[14:15], 2, v[13:14]
	v_add_co_u32 v14, vcc_lo, s6, v14
	s_delay_alu instid0(VALU_DEP_2)
	v_add_co_ci_u32_e32 v15, vcc_lo, s7, v15, vcc_lo
	s_waitcnt lgkmcnt(0)
	global_load_b32 v5, v[14:15], off
	v_mov_b32_e32 v15, s21
	s_and_saveexec_b32 s40, s2
	s_cbranch_execz .LBB14_61
; %bb.60:                               ;   in Loop: Header=BB14_59 Depth=2
	global_load_b32 v14, v[11:12], off
	s_waitcnt vmcnt(0)
	v_subrev_nc_u32_e32 v15, s24, v14
.LBB14_61:                              ;   in Loop: Header=BB14_59 Depth=2
	s_or_b32 exec_lo, exec_lo, s40
	s_waitcnt vmcnt(0)
	v_subrev_nc_u32_e32 v5, s24, v5
	v_mov_b32_e32 v16, v10
	s_mov_b32 s40, exec_lo
	s_delay_alu instid0(VALU_DEP_2)
	v_cmpx_lt_i32_e64 v15, v5
	s_cbranch_execz .LBB14_67
; %bb.62:                               ;   in Loop: Header=BB14_59 Depth=2
	v_mov_b32_e32 v14, v10
	s_mov_b32 s41, 0
	s_branch .LBB14_64
	.p2align	6
.LBB14_63:                              ;   in Loop: Header=BB14_64 Depth=3
	s_or_b32 exec_lo, exec_lo, s42
	s_delay_alu instid0(VALU_DEP_1) | instskip(SKIP_2) | instid1(SALU_CYCLE_1)
	v_cmp_ge_i32_e32 vcc_lo, v15, v5
	v_mov_b32_e32 v14, v16
	s_or_b32 s41, vcc_lo, s41
	s_and_not1_b32 exec_lo, exec_lo, s41
	s_cbranch_execz .LBB14_66
.LBB14_64:                              ;   Parent Loop BB14_16 Depth=1
                                        ;     Parent Loop BB14_59 Depth=2
                                        ; =>    This Inner Loop Header: Depth=3
	s_delay_alu instid0(VALU_DEP_1) | instskip(SKIP_1) | instid1(VALU_DEP_1)
	v_dual_mov_b32 v15, s21 :: v_dual_add_nc_u32 v16, 64, v14
	s_mov_b32 s42, exec_lo
	v_cmpx_lt_i32_e64 v16, v23
	s_cbranch_execz .LBB14_63
; %bb.65:                               ;   in Loop: Header=BB14_64 Depth=3
	v_ashrrev_i32_e32 v15, 31, v14
	s_delay_alu instid0(VALU_DEP_1) | instskip(NEXT) | instid1(VALU_DEP_1)
	v_lshlrev_b64 v[14:15], 2, v[14:15]
	v_add_co_u32 v14, vcc_lo, s31, v14
	s_delay_alu instid0(VALU_DEP_2)
	v_add_co_ci_u32_e32 v15, vcc_lo, s33, v15, vcc_lo
	global_load_b32 v14, v[14:15], off
	s_waitcnt vmcnt(0)
	v_subrev_nc_u32_e32 v15, s24, v14
	s_branch .LBB14_63
.LBB14_66:                              ;   in Loop: Header=BB14_59 Depth=2
	s_or_b32 exec_lo, exec_lo, s41
.LBB14_67:                              ;   in Loop: Header=BB14_59 Depth=2
	s_delay_alu instid0(SALU_CYCLE_1)
	s_or_b32 exec_lo, exec_lo, s40
	v_cmp_eq_u32_e32 vcc_lo, v15, v5
	s_cbranch_vccz .LBB14_58
; %bb.68:                               ;   in Loop: Header=BB14_59 Depth=2
	s_ctz_i32_b32 s40, vcc_lo
	s_delay_alu instid0(SALU_CYCLE_1) | instskip(NEXT) | instid1(SALU_CYCLE_1)
	s_lshl_b32 s40, s40, 2
	v_mov_b32_e32 v5, s40
	ds_bpermute_b32 v5, v5, v16
	s_and_saveexec_b32 s40, s0
	s_cbranch_execz .LBB14_57
; %bb.69:                               ;   in Loop: Header=BB14_59 Depth=2
	v_mul_lo_u32 v19, v13, s14
	s_waitcnt lgkmcnt(0)
	v_mul_lo_u32 v20, v5, s14
	v_mov_b32_e32 v21, v26
	v_mov_b32_e32 v5, v0
	s_mov_b32 s41, 0
	s_branch .LBB14_71
.LBB14_70:                              ;   in Loop: Header=BB14_71 Depth=3
	v_add_nc_u32_e32 v5, 64, v5
	v_add_nc_u32_e32 v21, s35, v21
	s_delay_alu instid0(VALU_DEP_2) | instskip(SKIP_1) | instid1(SALU_CYCLE_1)
	v_cmp_le_i32_e32 vcc_lo, s14, v5
	s_or_b32 s41, vcc_lo, s41
	s_and_not1_b32 exec_lo, exec_lo, s41
	s_cbranch_execz .LBB14_57
.LBB14_71:                              ;   Parent Loop BB14_16 Depth=1
                                        ;     Parent Loop BB14_59 Depth=2
                                        ; =>    This Loop Header: Depth=3
                                        ;         Child Loop BB14_74 Depth 4
                                        ;           Child Loop BB14_76 Depth 5
	s_delay_alu instid0(VALU_DEP_1) | instskip(SKIP_2) | instid1(VALU_DEP_2)
	v_add_nc_u32_e32 v14, v5, v20
	v_mov_b32_e32 v28, v18
	s_mov_b32 s42, 0
	v_mul_lo_u32 v22, v14, s14
	s_branch .LBB14_74
.LBB14_72:                              ;   in Loop: Header=BB14_74 Depth=4
	v_add_nc_u32_e32 v14, s42, v22
.LBB14_73:                              ;   in Loop: Header=BB14_74 Depth=4
	s_delay_alu instid0(VALU_DEP_1) | instskip(SKIP_2) | instid1(SALU_CYCLE_1)
	v_ashrrev_i32_e32 v15, 31, v14
	v_add_nc_u32_e32 v28, 1, v28
	s_add_i32 s42, s42, 1
	s_cmp_eq_u32 s42, s14
	s_delay_alu instid0(VALU_DEP_2) | instskip(NEXT) | instid1(VALU_DEP_1)
	v_lshlrev_b64 v[14:15], 3, v[14:15]
	v_add_co_u32 v14, vcc_lo, s8, v14
	s_delay_alu instid0(VALU_DEP_2)
	v_add_co_ci_u32_e32 v15, vcc_lo, s9, v15, vcc_lo
	global_load_b64 v[16:17], v[14:15], off
	s_waitcnt vmcnt(0)
	v_dual_sub_f32 v16, v16, v29 :: v_dual_sub_f32 v17, v17, v30
	global_store_b64 v[14:15], v[16:17], off
	s_cbranch_scc1 .LBB14_70
.LBB14_74:                              ;   Parent Loop BB14_16 Depth=1
                                        ;     Parent Loop BB14_59 Depth=2
                                        ;       Parent Loop BB14_71 Depth=3
                                        ; =>      This Loop Header: Depth=4
                                        ;           Child Loop BB14_76 Depth 5
	v_dual_mov_b32 v29, 0 :: v_dual_add_nc_u32 v14, s42, v19
	v_mov_b32_e32 v32, v28
	v_mov_b32_e32 v30, 0
	s_mov_b32 s43, 0
	s_delay_alu instid0(VALU_DEP_3)
	v_mul_lo_u32 v31, v14, s14
	s_set_inst_prefetch_distance 0x1
	s_branch .LBB14_76
	.p2align	6
.LBB14_75:                              ;   in Loop: Header=BB14_76 Depth=5
	s_delay_alu instid0(VALU_DEP_1) | instskip(SKIP_2) | instid1(SALU_CYCLE_1)
	v_ashrrev_i32_e32 v17, 31, v16
	v_add_nc_u32_e32 v32, s14, v32
	s_add_i32 s43, s43, 1
	s_cmp_eq_u32 s14, s43
	s_delay_alu instid0(VALU_DEP_2) | instskip(NEXT) | instid1(VALU_DEP_1)
	v_lshlrev_b64 v[16:17], 3, v[16:17]
	v_add_co_u32 v16, vcc_lo, s8, v16
	s_delay_alu instid0(VALU_DEP_2) | instskip(SKIP_4) | instid1(VALU_DEP_2)
	v_add_co_ci_u32_e32 v17, vcc_lo, s9, v17, vcc_lo
	global_load_b64 v[16:17], v[16:17], off
	s_waitcnt vmcnt(0)
	v_fmac_f32_e32 v29, v14, v16
	v_fmac_f32_e32 v30, v15, v16
	v_fma_f32 v29, -v15, v17, v29
	s_delay_alu instid0(VALU_DEP_2)
	v_fmac_f32_e32 v30, v14, v17
	s_cbranch_scc1 .LBB14_82
.LBB14_76:                              ;   Parent Loop BB14_16 Depth=1
                                        ;     Parent Loop BB14_59 Depth=2
                                        ;       Parent Loop BB14_71 Depth=3
                                        ;         Parent Loop BB14_74 Depth=4
                                        ; =>        This Inner Loop Header: Depth=5
	s_and_b32 vcc_lo, exec_lo, s28
	s_cbranch_vccz .LBB14_81
; %bb.77:                               ;   in Loop: Header=BB14_76 Depth=5
	v_add_nc_u32_e32 v16, s43, v27
	s_delay_alu instid0(VALU_DEP_1)
	v_mad_u64_u32 v[14:15], null, v16, s14, v[5:6]
	s_cbranch_execnz .LBB14_79
.LBB14_78:                              ;   in Loop: Header=BB14_76 Depth=5
	v_add_nc_u32_e32 v14, s43, v21
.LBB14_79:                              ;   in Loop: Header=BB14_76 Depth=5
	s_delay_alu instid0(VALU_DEP_1) | instskip(SKIP_1) | instid1(VALU_DEP_2)
	v_ashrrev_i32_e32 v15, 31, v14
	v_mov_b32_e32 v16, v32
	v_lshlrev_b64 v[14:15], 3, v[14:15]
	s_delay_alu instid0(VALU_DEP_1) | instskip(NEXT) | instid1(VALU_DEP_2)
	v_add_co_u32 v14, vcc_lo, s8, v14
	v_add_co_ci_u32_e32 v15, vcc_lo, s9, v15, vcc_lo
	s_and_not1_b32 vcc_lo, exec_lo, s28
	global_load_b64 v[14:15], v[14:15], off
	s_cbranch_vccnz .LBB14_75
; %bb.80:                               ;   in Loop: Header=BB14_76 Depth=5
	v_add_nc_u32_e32 v16, s43, v31
	s_branch .LBB14_75
.LBB14_81:                              ;   in Loop: Header=BB14_76 Depth=5
                                        ; implicit-def: $vgpr14
	s_branch .LBB14_78
.LBB14_82:                              ;   in Loop: Header=BB14_74 Depth=4
	s_set_inst_prefetch_distance 0x2
	s_and_b32 vcc_lo, exec_lo, s28
	s_cbranch_vccz .LBB14_84
; %bb.83:                               ;   in Loop: Header=BB14_74 Depth=4
	v_add_nc_u32_e32 v16, s42, v20
	s_delay_alu instid0(VALU_DEP_1)
	v_mad_u64_u32 v[14:15], null, v16, s14, v[5:6]
	s_cbranch_execnz .LBB14_73
	s_branch .LBB14_72
.LBB14_84:                              ;   in Loop: Header=BB14_74 Depth=4
                                        ; implicit-def: $vgpr14
	s_branch .LBB14_72
.LBB14_85:
	s_or_b32 exec_lo, exec_lo, s36
	s_delay_alu instid0(SALU_CYCLE_1)
	s_and_b32 s3, s37, exec_lo
.LBB14_86:
	s_or_b32 exec_lo, exec_lo, s22
	s_waitcnt lgkmcnt(0)
	v_ashrrev_i32_e32 v5, 31, v4
	s_cmp_gt_i32 s14, 0
	s_cselect_b32 s4, -1, 0
	s_delay_alu instid0(VALU_DEP_1) | instskip(NEXT) | instid1(VALU_DEP_1)
	v_lshlrev_b64 v[8:9], 2, v[4:5]
	v_add_co_u32 v8, vcc_lo, s6, v8
	s_delay_alu instid0(VALU_DEP_2) | instskip(SKIP_4) | instid1(VALU_DEP_1)
	v_add_co_ci_u32_e32 v9, vcc_lo, s7, v9, vcc_lo
	s_mov_b32 s6, 0
	global_load_b32 v5, v[8:9], off
	s_waitcnt vmcnt(0)
	v_subrev_nc_u32_e32 v5, s24, v5
	v_cmp_eq_u32_e32 vcc_lo, v5, v1
	s_and_b32 s0, s4, vcc_lo
	s_delay_alu instid0(SALU_CYCLE_1)
	s_and_saveexec_b32 s5, s0
	s_cbranch_execz .LBB14_132
; %bb.87:
	v_cvt_f64_f32_e32 v[8:9], v25
	v_mul_lo_u32 v19, v4, s14
	s_cmp_eq_u64 s[16:17], 8
	v_cmp_eq_u32_e64 s0, 0, v0
	s_cselect_b32 vcc_lo, -1, 0
	v_mov_b32_e32 v5, 0
	s_cmp_lg_u32 s20, 0
	s_mov_b32 s16, s3
	s_cselect_b32 s7, -1, 0
	v_add3_u32 v20, v19, v0, 1
	s_lshl_b32 s10, s14, 6
                                        ; implicit-def: $sgpr11
	v_dual_cndmask_b32 v7, v9, v7 :: v_dual_cndmask_b32 v6, v8, v6
	s_branch .LBB14_89
.LBB14_88:                              ;   in Loop: Header=BB14_89 Depth=1
	s_or_b32 exec_lo, exec_lo, s1
	s_delay_alu instid0(VALU_DEP_1) | instskip(SKIP_4) | instid1(SALU_CYCLE_1)
	v_cmp_eq_u32_e32 vcc_lo, s14, v22
	v_mov_b32_e32 v5, v22
	s_or_b32 s6, vcc_lo, s6
	s_and_not1_b32 s1, s11, exec_lo
	s_and_b32 s2, s16, exec_lo
	s_or_b32 s11, s1, s2
	s_and_not1_b32 exec_lo, exec_lo, s6
	s_cbranch_execz .LBB14_131
.LBB14_89:                              ; =>This Loop Header: Depth=1
                                        ;     Child Loop BB14_105 Depth 2
                                        ;       Child Loop BB14_115 Depth 3
	v_add_nc_u32_e32 v8, v5, v19
	s_mov_b32 s17, 0
	s_delay_alu instid0(VALU_DEP_1) | instskip(NEXT) | instid1(VALU_DEP_1)
	v_mul_lo_u32 v21, v8, s14
	v_add_nc_u32_e32 v8, v21, v5
	s_delay_alu instid0(VALU_DEP_1) | instskip(NEXT) | instid1(VALU_DEP_1)
	v_ashrrev_i32_e32 v9, 31, v8
	v_lshlrev_b64 v[8:9], 3, v[8:9]
	s_delay_alu instid0(VALU_DEP_1) | instskip(NEXT) | instid1(VALU_DEP_2)
	v_add_co_u32 v10, vcc_lo, s8, v8
	v_add_co_ci_u32_e32 v11, vcc_lo, s9, v9, vcc_lo
	v_cmp_ne_u32_e32 vcc_lo, 1, v24
	global_load_b64 v[8:9], v[10:11], off
	s_cbranch_vccnz .LBB14_100
; %bb.90:                               ;   in Loop: Header=BB14_89 Depth=1
	s_waitcnt vmcnt(0)
	v_cmp_gt_f32_e32 vcc_lo, 0, v8
                                        ; implicit-def: $vgpr14
	s_mov_b32 s1, exec_lo
	v_cndmask_b32_e64 v12, v8, -v8, vcc_lo
	v_cmp_gt_f32_e32 vcc_lo, 0, v9
	v_cndmask_b32_e64 v13, v9, -v9, vcc_lo
	s_delay_alu instid0(VALU_DEP_1)
	v_cmpx_ngt_f32_e32 v12, v13
	s_xor_b32 s2, exec_lo, s1
	s_cbranch_execz .LBB14_94
; %bb.91:                               ;   in Loop: Header=BB14_89 Depth=1
	v_mov_b32_e32 v14, 0
	s_mov_b32 s21, exec_lo
	v_cmpx_neq_f32_e32 0, v9
	s_cbranch_execz .LBB14_93
; %bb.92:                               ;   in Loop: Header=BB14_89 Depth=1
	v_div_scale_f32 v14, null, v13, v13, v12
	v_div_scale_f32 v17, vcc_lo, v12, v13, v12
	s_delay_alu instid0(VALU_DEP_2) | instskip(SKIP_2) | instid1(VALU_DEP_1)
	v_rcp_f32_e32 v15, v14
	s_waitcnt_depctr 0xfff
	v_fma_f32 v16, -v14, v15, 1.0
	v_fmac_f32_e32 v15, v16, v15
	s_delay_alu instid0(VALU_DEP_1) | instskip(NEXT) | instid1(VALU_DEP_1)
	v_mul_f32_e32 v16, v17, v15
	v_fma_f32 v18, -v14, v16, v17
	s_delay_alu instid0(VALU_DEP_1) | instskip(NEXT) | instid1(VALU_DEP_1)
	v_fmac_f32_e32 v16, v18, v15
	v_fma_f32 v14, -v14, v16, v17
	s_delay_alu instid0(VALU_DEP_1) | instskip(NEXT) | instid1(VALU_DEP_1)
	v_div_fmas_f32 v14, v14, v15, v16
	v_div_fixup_f32 v12, v14, v13, v12
	s_delay_alu instid0(VALU_DEP_1) | instskip(NEXT) | instid1(VALU_DEP_1)
	v_fma_f32 v12, v12, v12, 1.0
	v_mul_f32_e32 v14, 0x4f800000, v12
	v_cmp_gt_f32_e32 vcc_lo, 0xf800000, v12
	s_delay_alu instid0(VALU_DEP_2) | instskip(NEXT) | instid1(VALU_DEP_1)
	v_cndmask_b32_e32 v12, v12, v14, vcc_lo
	v_sqrt_f32_e32 v14, v12
	s_waitcnt_depctr 0xfff
	v_add_nc_u32_e32 v15, -1, v14
	v_add_nc_u32_e32 v16, 1, v14
	s_delay_alu instid0(VALU_DEP_2) | instskip(NEXT) | instid1(VALU_DEP_2)
	v_fma_f32 v17, -v15, v14, v12
	v_fma_f32 v18, -v16, v14, v12
	s_delay_alu instid0(VALU_DEP_2) | instskip(NEXT) | instid1(VALU_DEP_1)
	v_cmp_ge_f32_e64 s1, 0, v17
	v_cndmask_b32_e64 v14, v14, v15, s1
	s_delay_alu instid0(VALU_DEP_3) | instskip(NEXT) | instid1(VALU_DEP_1)
	v_cmp_lt_f32_e64 s1, 0, v18
	v_cndmask_b32_e64 v14, v14, v16, s1
	s_delay_alu instid0(VALU_DEP_1) | instskip(NEXT) | instid1(VALU_DEP_1)
	v_mul_f32_e32 v15, 0x37800000, v14
	v_cndmask_b32_e32 v14, v14, v15, vcc_lo
	v_cmp_class_f32_e64 vcc_lo, v12, 0x260
	s_delay_alu instid0(VALU_DEP_2) | instskip(NEXT) | instid1(VALU_DEP_1)
	v_cndmask_b32_e32 v12, v14, v12, vcc_lo
	v_mul_f32_e32 v14, v13, v12
.LBB14_93:                              ;   in Loop: Header=BB14_89 Depth=1
	s_or_b32 exec_lo, exec_lo, s21
                                        ; implicit-def: $vgpr12
                                        ; implicit-def: $vgpr13
.LBB14_94:                              ;   in Loop: Header=BB14_89 Depth=1
	s_and_not1_saveexec_b32 s2, s2
	s_cbranch_execz .LBB14_96
; %bb.95:                               ;   in Loop: Header=BB14_89 Depth=1
	v_div_scale_f32 v14, null, v12, v12, v13
	v_div_scale_f32 v17, vcc_lo, v13, v12, v13
	s_delay_alu instid0(VALU_DEP_2) | instskip(SKIP_2) | instid1(VALU_DEP_1)
	v_rcp_f32_e32 v15, v14
	s_waitcnt_depctr 0xfff
	v_fma_f32 v16, -v14, v15, 1.0
	v_fmac_f32_e32 v15, v16, v15
	s_delay_alu instid0(VALU_DEP_1) | instskip(NEXT) | instid1(VALU_DEP_1)
	v_mul_f32_e32 v16, v17, v15
	v_fma_f32 v18, -v14, v16, v17
	s_delay_alu instid0(VALU_DEP_1) | instskip(NEXT) | instid1(VALU_DEP_1)
	v_fmac_f32_e32 v16, v18, v15
	v_fma_f32 v14, -v14, v16, v17
	s_delay_alu instid0(VALU_DEP_1) | instskip(NEXT) | instid1(VALU_DEP_1)
	v_div_fmas_f32 v14, v14, v15, v16
	v_div_fixup_f32 v13, v14, v12, v13
	s_delay_alu instid0(VALU_DEP_1) | instskip(NEXT) | instid1(VALU_DEP_1)
	v_fma_f32 v13, v13, v13, 1.0
	v_mul_f32_e32 v14, 0x4f800000, v13
	v_cmp_gt_f32_e32 vcc_lo, 0xf800000, v13
	s_delay_alu instid0(VALU_DEP_2) | instskip(NEXT) | instid1(VALU_DEP_1)
	v_cndmask_b32_e32 v13, v13, v14, vcc_lo
	v_sqrt_f32_e32 v14, v13
	s_waitcnt_depctr 0xfff
	v_add_nc_u32_e32 v15, -1, v14
	v_add_nc_u32_e32 v16, 1, v14
	s_delay_alu instid0(VALU_DEP_2) | instskip(NEXT) | instid1(VALU_DEP_2)
	v_fma_f32 v17, -v15, v14, v13
	v_fma_f32 v18, -v16, v14, v13
	s_delay_alu instid0(VALU_DEP_2) | instskip(NEXT) | instid1(VALU_DEP_1)
	v_cmp_ge_f32_e64 s1, 0, v17
	v_cndmask_b32_e64 v14, v14, v15, s1
	s_delay_alu instid0(VALU_DEP_3) | instskip(NEXT) | instid1(VALU_DEP_1)
	v_cmp_lt_f32_e64 s1, 0, v18
	v_cndmask_b32_e64 v14, v14, v16, s1
	s_delay_alu instid0(VALU_DEP_1) | instskip(NEXT) | instid1(VALU_DEP_1)
	v_mul_f32_e32 v15, 0x37800000, v14
	v_cndmask_b32_e32 v14, v14, v15, vcc_lo
	v_cmp_class_f32_e64 vcc_lo, v13, 0x260
	s_delay_alu instid0(VALU_DEP_2) | instskip(NEXT) | instid1(VALU_DEP_1)
	v_cndmask_b32_e32 v13, v14, v13, vcc_lo
	v_mul_f32_e32 v14, v12, v13
.LBB14_96:                              ;   in Loop: Header=BB14_89 Depth=1
	s_or_b32 exec_lo, exec_lo, s2
	s_delay_alu instid0(VALU_DEP_1) | instskip(NEXT) | instid1(VALU_DEP_1)
	v_cvt_f64_f32_e32 v[12:13], v14
	v_cmp_ge_f64_e32 vcc_lo, v[6:7], v[12:13]
	v_cndmask_b32_e64 v12, v8, s25, vcc_lo
	v_cndmask_b32_e64 v13, v9, s26, vcc_lo
	s_and_saveexec_b32 s1, s0
	s_cbranch_execz .LBB14_98
; %bb.97:                               ;   in Loop: Header=BB14_89 Depth=1
	global_store_b64 v[10:11], v[12:13], off
.LBB14_98:                              ;   in Loop: Header=BB14_89 Depth=1
	s_or_b32 exec_lo, exec_lo, s1
	s_mov_b32 s2, -1
.LBB14_99:                              ;   in Loop: Header=BB14_89 Depth=1
	s_waitcnt vmcnt(0)
	v_dual_mov_b32 v8, v12 :: v_dual_mov_b32 v9, v13
                                        ; implicit-def: $sgpr1
                                        ; implicit-def: $vgpr22
	s_and_saveexec_b32 s21, s2
	s_delay_alu instid0(SALU_CYCLE_1)
	s_xor_b32 s21, exec_lo, s21
	s_cbranch_execz .LBB14_129
	s_branch .LBB14_102
.LBB14_100:                             ;   in Loop: Header=BB14_89 Depth=1
	s_mov_b32 s2, 0
                                        ; implicit-def: $vgpr12
	s_cbranch_execz .LBB14_99
; %bb.101:                              ;   in Loop: Header=BB14_89 Depth=1
	s_waitcnt vmcnt(0)
	v_cmp_neq_f32_e32 vcc_lo, 0, v8
	v_cmp_neq_f32_e64 s1, 0, v9
	s_and_not1_b32 s2, s2, exec_lo
	s_mov_b32 s17, -1
	s_delay_alu instid0(VALU_DEP_1) | instskip(NEXT) | instid1(SALU_CYCLE_1)
	s_or_b32 s1, vcc_lo, s1
	s_and_b32 s1, s1, exec_lo
	s_delay_alu instid0(SALU_CYCLE_1) | instskip(NEXT) | instid1(SALU_CYCLE_1)
	s_or_b32 s2, s2, s1
                                        ; implicit-def: $sgpr1
                                        ; implicit-def: $vgpr22
	s_and_saveexec_b32 s21, s2
	s_delay_alu instid0(SALU_CYCLE_1)
	s_xor_b32 s21, exec_lo, s21
	s_cbranch_execz .LBB14_129
.LBB14_102:                             ;   in Loop: Header=BB14_89 Depth=1
	v_add_nc_u32_e32 v22, 1, v5
	s_mov_b32 s22, exec_lo
	s_delay_alu instid0(VALU_DEP_1) | instskip(NEXT) | instid1(VALU_DEP_1)
	v_add_nc_u32_e32 v10, v22, v0
	v_cmpx_gt_i32_e64 s14, v10
	s_cbranch_execz .LBB14_128
; %bb.103:                              ;   in Loop: Header=BB14_89 Depth=1
	v_mul_f32_e32 v11, v9, v9
	v_cmp_gt_i32_e64 s1, s14, v22
	s_mov_b32 s23, 0
	s_delay_alu instid0(VALU_DEP_2) | instskip(NEXT) | instid1(VALU_DEP_1)
	v_fmac_f32_e32 v11, v8, v8
	v_div_scale_f32 v12, null, v11, v11, 1.0
	v_div_scale_f32 v15, vcc_lo, 1.0, v11, 1.0
	s_delay_alu instid0(VALU_DEP_2) | instskip(SKIP_2) | instid1(VALU_DEP_1)
	v_rcp_f32_e32 v13, v12
	s_waitcnt_depctr 0xfff
	v_fma_f32 v14, -v12, v13, 1.0
	v_fmac_f32_e32 v13, v14, v13
	s_delay_alu instid0(VALU_DEP_1) | instskip(NEXT) | instid1(VALU_DEP_1)
	v_mul_f32_e32 v14, v15, v13
	v_fma_f32 v16, -v12, v14, v15
	s_delay_alu instid0(VALU_DEP_1) | instskip(NEXT) | instid1(VALU_DEP_1)
	v_fmac_f32_e32 v14, v16, v13
	v_fma_f32 v12, -v12, v14, v15
	v_add_nc_u32_e32 v15, v20, v5
	s_delay_alu instid0(VALU_DEP_2) | instskip(NEXT) | instid1(VALU_DEP_2)
	v_div_fmas_f32 v12, v12, v13, v14
	v_mul_lo_u32 v25, s14, v15
	s_delay_alu instid0(VALU_DEP_2)
	v_div_fixup_f32 v26, v12, v11, 1.0
	s_branch .LBB14_105
.LBB14_104:                             ;   in Loop: Header=BB14_105 Depth=2
	s_or_b32 exec_lo, exec_lo, s27
	v_add_nc_u32_e32 v10, 64, v10
	v_add_nc_u32_e32 v25, s10, v25
	s_delay_alu instid0(VALU_DEP_2) | instskip(SKIP_1) | instid1(SALU_CYCLE_1)
	v_cmp_le_i32_e32 vcc_lo, s14, v10
	s_or_b32 s23, vcc_lo, s23
	s_and_not1_b32 exec_lo, exec_lo, s23
	s_cbranch_execz .LBB14_128
.LBB14_105:                             ;   Parent Loop BB14_89 Depth=1
                                        ; =>  This Loop Header: Depth=2
                                        ;       Child Loop BB14_115 Depth 3
	v_add_nc_u32_e32 v11, v10, v21
	s_and_b32 vcc_lo, exec_lo, s7
	s_cbranch_vccz .LBB14_126
; %bb.106:                              ;   in Loop: Header=BB14_105 Depth=2
	v_add_nc_u32_e32 v12, v10, v21
	s_cbranch_execnz .LBB14_108
.LBB14_107:                             ;   in Loop: Header=BB14_105 Depth=2
	v_add_nc_u32_e32 v14, v10, v19
	s_delay_alu instid0(VALU_DEP_1)
	v_mad_u64_u32 v[12:13], null, v14, s14, v[5:6]
.LBB14_108:                             ;   in Loop: Header=BB14_105 Depth=2
	s_delay_alu instid0(VALU_DEP_1) | instskip(NEXT) | instid1(VALU_DEP_1)
	v_ashrrev_i32_e32 v13, 31, v12
	v_lshlrev_b64 v[12:13], 3, v[12:13]
	s_delay_alu instid0(VALU_DEP_1) | instskip(NEXT) | instid1(VALU_DEP_2)
	v_add_co_u32 v12, vcc_lo, s8, v12
	v_add_co_ci_u32_e32 v13, vcc_lo, s9, v13, vcc_lo
	s_and_b32 vcc_lo, exec_lo, s7
	global_load_b64 v[13:14], v[12:13], off
	s_cbranch_vccz .LBB14_127
; %bb.109:                              ;   in Loop: Header=BB14_105 Depth=2
	s_cbranch_execnz .LBB14_111
.LBB14_110:                             ;   in Loop: Header=BB14_105 Depth=2
	v_add_nc_u32_e32 v15, v10, v19
	s_delay_alu instid0(VALU_DEP_1)
	v_mad_u64_u32 v[11:12], null, v15, s14, v[5:6]
.LBB14_111:                             ;   in Loop: Header=BB14_105 Depth=2
	s_waitcnt vmcnt(0)
	v_mul_f32_e64 v16, v9, -v13
	v_mul_f32_e32 v15, v9, v14
	s_delay_alu instid0(VALU_DEP_3) | instskip(NEXT) | instid1(VALU_DEP_3)
	v_ashrrev_i32_e32 v12, 31, v11
	v_fmac_f32_e32 v16, v14, v8
	s_delay_alu instid0(VALU_DEP_3) | instskip(NEXT) | instid1(VALU_DEP_3)
	v_fmac_f32_e32 v15, v13, v8
	v_lshlrev_b64 v[13:14], 3, v[11:12]
	s_delay_alu instid0(VALU_DEP_3) | instskip(NEXT) | instid1(VALU_DEP_3)
	v_mul_f32_e32 v12, v26, v16
	v_mul_f32_e32 v11, v26, v15
	s_delay_alu instid0(VALU_DEP_3) | instskip(NEXT) | instid1(VALU_DEP_4)
	v_add_co_u32 v13, vcc_lo, s8, v13
	v_add_co_ci_u32_e32 v14, vcc_lo, s9, v14, vcc_lo
	global_store_b64 v[13:14], v[11:12], off
	s_and_saveexec_b32 s27, s1
	s_cbranch_execz .LBB14_104
; %bb.112:                              ;   in Loop: Header=BB14_105 Depth=2
	v_mov_b32_e32 v27, v22
	s_mov_b32 s28, 0
	s_branch .LBB14_115
.LBB14_113:                             ;   in Loop: Header=BB14_115 Depth=3
	v_add_nc_u32_e32 v15, v25, v27
.LBB14_114:                             ;   in Loop: Header=BB14_115 Depth=3
	s_delay_alu instid0(VALU_DEP_1)
	v_ashrrev_i32_e32 v16, 31, v15
	s_waitcnt vmcnt(0)
	v_fma_f32 v17, -v11, v13, v17
	v_fma_f32 v13, -v12, v13, v18
	v_add_nc_u32_e32 v27, 1, v27
	v_lshlrev_b64 v[15:16], 3, v[15:16]
	s_delay_alu instid0(VALU_DEP_4) | instskip(NEXT) | instid1(VALU_DEP_4)
	v_fmac_f32_e32 v17, v12, v14
	v_fma_f32 v18, -v11, v14, v13
	s_delay_alu instid0(VALU_DEP_4) | instskip(NEXT) | instid1(VALU_DEP_4)
	v_cmp_le_i32_e32 vcc_lo, s14, v27
	v_add_co_u32 v13, s2, s8, v15
	s_delay_alu instid0(VALU_DEP_1)
	v_add_co_ci_u32_e64 v14, s2, s9, v16, s2
	s_or_b32 s28, vcc_lo, s28
	global_store_b64 v[13:14], v[17:18], off
	s_and_not1_b32 exec_lo, exec_lo, s28
	s_cbranch_execz .LBB14_104
.LBB14_115:                             ;   Parent Loop BB14_89 Depth=1
                                        ;     Parent Loop BB14_105 Depth=2
                                        ; =>    This Inner Loop Header: Depth=3
	s_delay_alu instid0(VALU_DEP_1)
	v_add_nc_u32_e32 v28, v27, v19
	s_and_b32 vcc_lo, exec_lo, s7
	s_cbranch_vccz .LBB14_123
; %bb.116:                              ;   in Loop: Header=BB14_115 Depth=3
	s_delay_alu instid0(VALU_DEP_1)
	v_mad_u64_u32 v[13:14], null, v28, s14, v[5:6]
	s_cbranch_execnz .LBB14_118
.LBB14_117:                             ;   in Loop: Header=BB14_115 Depth=3
	v_add_nc_u32_e32 v13, v21, v27
.LBB14_118:                             ;   in Loop: Header=BB14_115 Depth=3
	s_delay_alu instid0(VALU_DEP_1) | instskip(NEXT) | instid1(VALU_DEP_1)
	v_ashrrev_i32_e32 v14, 31, v13
	v_lshlrev_b64 v[13:14], 3, v[13:14]
	s_delay_alu instid0(VALU_DEP_1) | instskip(NEXT) | instid1(VALU_DEP_2)
	v_add_co_u32 v13, vcc_lo, s8, v13
	v_add_co_ci_u32_e32 v14, vcc_lo, s9, v14, vcc_lo
	s_and_b32 vcc_lo, exec_lo, s7
	global_load_b64 v[13:14], v[13:14], off
	s_cbranch_vccz .LBB14_124
; %bb.119:                              ;   in Loop: Header=BB14_115 Depth=3
	v_mad_u64_u32 v[15:16], null, v28, s14, v[10:11]
	s_cbranch_execnz .LBB14_121
.LBB14_120:                             ;   in Loop: Header=BB14_115 Depth=3
	v_add_nc_u32_e32 v15, v25, v27
.LBB14_121:                             ;   in Loop: Header=BB14_115 Depth=3
	s_delay_alu instid0(VALU_DEP_1) | instskip(NEXT) | instid1(VALU_DEP_1)
	v_ashrrev_i32_e32 v16, 31, v15
	v_lshlrev_b64 v[15:16], 3, v[15:16]
	s_delay_alu instid0(VALU_DEP_1) | instskip(NEXT) | instid1(VALU_DEP_2)
	v_add_co_u32 v15, vcc_lo, s8, v15
	v_add_co_ci_u32_e32 v16, vcc_lo, s9, v16, vcc_lo
	s_and_b32 vcc_lo, exec_lo, s7
	global_load_b64 v[17:18], v[15:16], off
	s_cbranch_vccz .LBB14_125
; %bb.122:                              ;   in Loop: Header=BB14_115 Depth=3
	v_mad_u64_u32 v[15:16], null, v28, s14, v[10:11]
	s_cbranch_execnz .LBB14_114
	s_branch .LBB14_113
.LBB14_123:                             ;   in Loop: Header=BB14_115 Depth=3
                                        ; implicit-def: $vgpr13
	s_branch .LBB14_117
.LBB14_124:                             ;   in Loop: Header=BB14_115 Depth=3
                                        ; implicit-def: $vgpr15
	s_branch .LBB14_120
.LBB14_125:                             ;   in Loop: Header=BB14_115 Depth=3
                                        ; implicit-def: $vgpr15
	s_branch .LBB14_113
.LBB14_126:                             ;   in Loop: Header=BB14_105 Depth=2
                                        ; implicit-def: $vgpr12
	s_branch .LBB14_107
.LBB14_127:                             ;   in Loop: Header=BB14_105 Depth=2
                                        ; implicit-def: $vgpr11
	s_branch .LBB14_110
.LBB14_128:                             ;   in Loop: Header=BB14_89 Depth=1
	s_or_b32 exec_lo, exec_lo, s22
	s_delay_alu instid0(SALU_CYCLE_1)
	s_and_b32 s1, s16, exec_lo
	s_and_not1_b32 s17, s17, exec_lo
.LBB14_129:                             ;   in Loop: Header=BB14_89 Depth=1
	s_or_b32 exec_lo, exec_lo, s21
	s_delay_alu instid0(SALU_CYCLE_1) | instskip(SKIP_1) | instid1(SALU_CYCLE_1)
	s_and_not1_b32 s2, s16, exec_lo
	s_and_b32 s1, s1, exec_lo
	s_or_b32 s16, s2, s1
	s_and_saveexec_b32 s1, s17
	s_cbranch_execz .LBB14_88
; %bb.130:                              ;   in Loop: Header=BB14_89 Depth=1
	v_add_nc_u32_e32 v22, 1, v5
	s_or_b32 s16, s16, exec_lo
	s_branch .LBB14_88
.LBB14_131:
	s_or_b32 exec_lo, exec_lo, s6
	s_delay_alu instid0(SALU_CYCLE_1) | instskip(SKIP_1) | instid1(SALU_CYCLE_1)
	s_and_not1_b32 s0, s3, exec_lo
	s_and_b32 s1, s11, exec_lo
	s_or_b32 s3, s0, s1
.LBB14_132:
	s_or_b32 exec_lo, exec_lo, s5
	v_add_nc_u32_e32 v13, 1, v4
	s_mov_b32 s1, exec_lo
	s_delay_alu instid0(VALU_DEP_1)
	v_cmpx_lt_i32_e64 v13, v23
	s_cbranch_execz .LBB14_156
; %bb.133:
	v_mul_lo_u32 v14, v4, s14
	s_mul_i32 s2, s14, s14
	v_cmp_gt_i32_e64 s0, s14, v0
	v_mul_lo_u32 v6, s2, v13
	s_cmp_lg_u32 s20, 0
	s_mov_b32 s5, 0
	s_cselect_b32 s6, -1, 0
	s_add_i32 s7, s14, 1
	v_mad_u64_u32 v[4:5], null, s14, v14, s[14:15]
	s_delay_alu instid0(VALU_DEP_2)
	v_add3_u32 v15, v6, s14, v0
	s_branch .LBB14_135
.LBB14_134:                             ;   in Loop: Header=BB14_135 Depth=1
	v_add_nc_u32_e32 v13, 1, v13
	v_add_nc_u32_e32 v15, s2, v15
	s_delay_alu instid0(VALU_DEP_2) | instskip(SKIP_1) | instid1(SALU_CYCLE_1)
	v_cmp_ge_i32_e32 vcc_lo, v13, v23
	s_or_b32 s5, vcc_lo, s5
	s_and_not1_b32 exec_lo, exec_lo, s5
	s_cbranch_execz .LBB14_156
.LBB14_135:                             ; =>This Loop Header: Depth=1
                                        ;     Child Loop BB14_138 Depth 2
                                        ;       Child Loop BB14_141 Depth 3
                                        ;         Child Loop BB14_145 Depth 4
	s_and_not1_b32 vcc_lo, exec_lo, s4
	s_cbranch_vccnz .LBB14_134
; %bb.136:                              ;   in Loop: Header=BB14_135 Depth=1
	v_mul_lo_u32 v16, v13, s14
	s_delay_alu instid0(VALU_DEP_3)
	v_dual_mov_b32 v17, v15 :: v_dual_mov_b32 v18, v4
	s_mov_b32 s10, 0
	s_branch .LBB14_138
.LBB14_137:                             ;   in Loop: Header=BB14_138 Depth=2
	s_or_b32 exec_lo, exec_lo, s16
	v_add_nc_u32_e32 v18, s7, v18
	v_add_nc_u32_e32 v17, s14, v17
	s_cmp_eq_u32 s11, s14
	s_mov_b32 s10, s11
	s_cbranch_scc1 .LBB14_134
.LBB14_138:                             ;   Parent Loop BB14_135 Depth=1
                                        ; =>  This Loop Header: Depth=2
                                        ;       Child Loop BB14_141 Depth 3
                                        ;         Child Loop BB14_145 Depth 4
	s_add_i32 s11, s10, 1
	s_and_saveexec_b32 s16, s0
	s_cbranch_execz .LBB14_137
; %bb.139:                              ;   in Loop: Header=BB14_138 Depth=2
	v_dual_mov_b32 v22, v0 :: v_dual_add_nc_u32 v5, s10, v14
	v_dual_mov_b32 v21, v17 :: v_dual_add_nc_u32 v6, s10, v16
	s_cmp_lt_i32 s11, s14
	s_delay_alu instid0(VALU_DEP_2) | instskip(SKIP_1) | instid1(VALU_DEP_2)
	v_mul_lo_u32 v19, v5, s14
	s_cselect_b32 s17, -1, 0
	v_mul_lo_u32 v20, v6, s14
	s_mov_b32 s20, 0
	s_branch .LBB14_141
.LBB14_140:                             ;   in Loop: Header=BB14_141 Depth=3
	v_add_nc_u32_e32 v22, 64, v22
	v_add_nc_u32_e32 v21, 64, v21
	s_delay_alu instid0(VALU_DEP_2) | instskip(SKIP_1) | instid1(SALU_CYCLE_1)
	v_cmp_le_i32_e32 vcc_lo, s14, v22
	s_or_b32 s20, vcc_lo, s20
	s_and_not1_b32 exec_lo, exec_lo, s20
	s_cbranch_execz .LBB14_137
.LBB14_141:                             ;   Parent Loop BB14_135 Depth=1
                                        ;     Parent Loop BB14_138 Depth=2
                                        ; =>    This Loop Header: Depth=3
                                        ;         Child Loop BB14_145 Depth 4
	s_and_not1_b32 vcc_lo, exec_lo, s17
	s_cbranch_vccnz .LBB14_140
; %bb.142:                              ;   in Loop: Header=BB14_141 Depth=3
	v_add_nc_u32_e32 v5, v22, v16
	s_delay_alu instid0(VALU_DEP_2) | instskip(SKIP_2) | instid1(VALU_DEP_2)
	v_add_nc_u32_e32 v26, v22, v20
	s_mov_b32 s21, 0
	s_mov_b32 s22, s11
	v_mul_lo_u32 v24, v5, s14
	s_delay_alu instid0(VALU_DEP_1)
	v_add_nc_u32_e32 v25, s10, v24
	s_branch .LBB14_145
.LBB14_143:                             ;   in Loop: Header=BB14_145 Depth=4
	v_mov_b32_e32 v9, v27
.LBB14_144:                             ;   in Loop: Header=BB14_145 Depth=4
	s_delay_alu instid0(VALU_DEP_1)
	v_ashrrev_i32_e32 v10, 31, v9
	s_waitcnt vmcnt(0)
	v_fma_f32 v11, -v5, v7, v11
	v_fma_f32 v7, -v6, v7, v12
	s_add_i32 s22, s22, 1
	s_add_i32 s21, s21, s14
	v_lshlrev_b64 v[9:10], 3, v[9:10]
	v_fmac_f32_e32 v11, v6, v8
	v_fma_f32 v12, -v5, v8, v7
	s_cmp_ge_i32 s22, s14
	s_delay_alu instid0(VALU_DEP_3) | instskip(NEXT) | instid1(VALU_DEP_4)
	v_add_co_u32 v5, vcc_lo, s8, v9
	v_add_co_ci_u32_e32 v6, vcc_lo, s9, v10, vcc_lo
	global_store_b64 v[5:6], v[11:12], off
	s_cbranch_scc1 .LBB14_140
.LBB14_145:                             ;   Parent Loop BB14_135 Depth=1
                                        ;     Parent Loop BB14_138 Depth=2
                                        ;       Parent Loop BB14_141 Depth=3
                                        ; =>      This Inner Loop Header: Depth=4
	s_and_b32 vcc_lo, exec_lo, s6
	s_cbranch_vccz .LBB14_153
; %bb.146:                              ;   in Loop: Header=BB14_145 Depth=4
	v_add_nc_u32_e32 v5, s22, v19
	v_mov_b32_e32 v7, v25
	s_cbranch_execnz .LBB14_148
.LBB14_147:                             ;   in Loop: Header=BB14_145 Depth=4
	v_add_nc_u32_e32 v5, s21, v18
	v_mov_b32_e32 v7, v26
.LBB14_148:                             ;   in Loop: Header=BB14_145 Depth=4
	s_delay_alu instid0(VALU_DEP_2) | instskip(NEXT) | instid1(VALU_DEP_2)
	v_ashrrev_i32_e32 v6, 31, v5
	v_ashrrev_i32_e32 v8, 31, v7
	v_add_nc_u32_e32 v9, s22, v24
	s_delay_alu instid0(VALU_DEP_3) | instskip(NEXT) | instid1(VALU_DEP_3)
	v_lshlrev_b64 v[5:6], 3, v[5:6]
	v_lshlrev_b64 v[7:8], 3, v[7:8]
	s_delay_alu instid0(VALU_DEP_2) | instskip(NEXT) | instid1(VALU_DEP_3)
	v_add_co_u32 v5, vcc_lo, s8, v5
	v_add_co_ci_u32_e32 v6, vcc_lo, s9, v6, vcc_lo
	s_delay_alu instid0(VALU_DEP_3) | instskip(NEXT) | instid1(VALU_DEP_4)
	v_add_co_u32 v7, vcc_lo, s8, v7
	v_add_co_ci_u32_e32 v8, vcc_lo, s9, v8, vcc_lo
	s_and_b32 vcc_lo, exec_lo, s6
	s_clause 0x1
	global_load_b64 v[5:6], v[5:6], off
	global_load_b64 v[7:8], v[7:8], off
	s_cbranch_vccz .LBB14_154
; %bb.149:                              ;   in Loop: Header=BB14_145 Depth=4
	v_add_nc_u32_e32 v10, s22, v24
	v_add_nc_u32_e32 v27, s21, v21
	s_cbranch_execnz .LBB14_151
.LBB14_150:                             ;   in Loop: Header=BB14_145 Depth=4
	v_add_nc_u32_e32 v10, s21, v21
.LBB14_151:                             ;   in Loop: Header=BB14_145 Depth=4
	s_delay_alu instid0(VALU_DEP_1) | instskip(NEXT) | instid1(VALU_DEP_1)
	v_ashrrev_i32_e32 v11, 31, v10
	v_lshlrev_b64 v[10:11], 3, v[10:11]
	s_delay_alu instid0(VALU_DEP_1) | instskip(NEXT) | instid1(VALU_DEP_2)
	v_add_co_u32 v10, vcc_lo, s8, v10
	v_add_co_ci_u32_e32 v11, vcc_lo, s9, v11, vcc_lo
	s_and_b32 vcc_lo, exec_lo, s6
	global_load_b64 v[11:12], v[10:11], off
	s_cbranch_vccz .LBB14_155
; %bb.152:                              ;   in Loop: Header=BB14_145 Depth=4
	s_cbranch_execnz .LBB14_144
	s_branch .LBB14_143
.LBB14_153:                             ;   in Loop: Header=BB14_145 Depth=4
                                        ; implicit-def: $vgpr5
	s_delay_alu instid0(VALU_DEP_1)
	v_mov_b32_e32 v7, v25
	s_branch .LBB14_147
.LBB14_154:                             ;   in Loop: Header=BB14_145 Depth=4
                                        ; implicit-def: $vgpr10
	v_add_nc_u32_e32 v27, s21, v21
	s_branch .LBB14_150
.LBB14_155:                             ;   in Loop: Header=BB14_145 Depth=4
                                        ; implicit-def: $vgpr9
	s_branch .LBB14_143
.LBB14_156:
	s_or_b32 exec_lo, exec_lo, s1
	s_delay_alu instid0(SALU_CYCLE_1)
	s_or_not1_b32 s2, s3, exec_lo
.LBB14_157:
	s_or_b32 exec_lo, exec_lo, s15
	v_cmp_eq_u32_e32 vcc_lo, 0, v0
	s_and_b32 exec_lo, exec_lo, vcc_lo
	s_cbranch_execz .LBB14_163
; %bb.158:
	v_add_co_u32 v2, vcc_lo, s12, v2
	v_add_co_ci_u32_e32 v3, vcc_lo, s13, v3, vcc_lo
	v_mov_b32_e32 v0, 1
	s_waitcnt_vscnt null, 0x0
	global_store_b32 v[2:3], v0, off
	s_and_b32 exec_lo, exec_lo, s2
	s_cbranch_execz .LBB14_163
; %bb.159:
	v_add_nc_u32_e32 v0, s24, v1
	s_mov_b32 s1, exec_lo
	s_brev_b32 s0, -2
.LBB14_160:                             ; =>This Inner Loop Header: Depth=1
	s_ctz_i32_b32 s2, s1
	s_delay_alu instid0(VALU_DEP_1) | instid1(SALU_CYCLE_1)
	v_readlane_b32 s3, v0, s2
	s_lshl_b32 s2, 1, s2
	s_delay_alu instid0(SALU_CYCLE_1) | instskip(NEXT) | instid1(VALU_DEP_1)
	s_and_not1_b32 s1, s1, s2
	s_min_i32 s0, s0, s3
	s_cmp_lg_u32 s1, 0
	s_cbranch_scc1 .LBB14_160
; %bb.161:
	v_mbcnt_lo_u32_b32 v0, exec_lo, 0
	s_mov_b32 s1, exec_lo
	s_delay_alu instid0(VALU_DEP_1)
	v_cmpx_eq_u32_e32 0, v0
	s_xor_b32 s1, exec_lo, s1
	s_cbranch_execz .LBB14_163
; %bb.162:
	v_dual_mov_b32 v0, 0 :: v_dual_mov_b32 v1, s0
	global_atomic_min_i32 v0, v1, s[18:19]
.LBB14_163:
	s_nop 0
	s_sendmsg sendmsg(MSG_DEALLOC_VGPRS)
	s_endpgm
	.section	.rodata,"a",@progbits
	.p2align	6, 0x0
	.amdhsa_kernel _ZN9rocsparseL15bsrilu0_generalILj128ELj64ELb1E21rocsparse_complex_numIfEEEv20rocsparse_direction_iPKiS5_PT2_S5_iPiS5_S8_21rocsparse_index_base_imNS_24const_host_device_scalarIfEENSA_IdEENSA_IS6_EEb
		.amdhsa_group_segment_fixed_size 0
		.amdhsa_private_segment_fixed_size 0
		.amdhsa_kernarg_size 116
		.amdhsa_user_sgpr_count 15
		.amdhsa_user_sgpr_dispatch_ptr 0
		.amdhsa_user_sgpr_queue_ptr 0
		.amdhsa_user_sgpr_kernarg_segment_ptr 1
		.amdhsa_user_sgpr_dispatch_id 0
		.amdhsa_user_sgpr_private_segment_size 0
		.amdhsa_wavefront_size32 1
		.amdhsa_uses_dynamic_stack 0
		.amdhsa_enable_private_segment 0
		.amdhsa_system_sgpr_workgroup_id_x 1
		.amdhsa_system_sgpr_workgroup_id_y 0
		.amdhsa_system_sgpr_workgroup_id_z 0
		.amdhsa_system_sgpr_workgroup_info 0
		.amdhsa_system_vgpr_workitem_id 0
		.amdhsa_next_free_vgpr 39
		.amdhsa_next_free_sgpr 45
		.amdhsa_reserve_vcc 1
		.amdhsa_float_round_mode_32 0
		.amdhsa_float_round_mode_16_64 0
		.amdhsa_float_denorm_mode_32 3
		.amdhsa_float_denorm_mode_16_64 3
		.amdhsa_dx10_clamp 1
		.amdhsa_ieee_mode 1
		.amdhsa_fp16_overflow 0
		.amdhsa_workgroup_processor_mode 1
		.amdhsa_memory_ordered 1
		.amdhsa_forward_progress 0
		.amdhsa_shared_vgpr_count 0
		.amdhsa_exception_fp_ieee_invalid_op 0
		.amdhsa_exception_fp_denorm_src 0
		.amdhsa_exception_fp_ieee_div_zero 0
		.amdhsa_exception_fp_ieee_overflow 0
		.amdhsa_exception_fp_ieee_underflow 0
		.amdhsa_exception_fp_ieee_inexact 0
		.amdhsa_exception_int_div_zero 0
	.end_amdhsa_kernel
	.section	.text._ZN9rocsparseL15bsrilu0_generalILj128ELj64ELb1E21rocsparse_complex_numIfEEEv20rocsparse_direction_iPKiS5_PT2_S5_iPiS5_S8_21rocsparse_index_base_imNS_24const_host_device_scalarIfEENSA_IdEENSA_IS6_EEb,"axG",@progbits,_ZN9rocsparseL15bsrilu0_generalILj128ELj64ELb1E21rocsparse_complex_numIfEEEv20rocsparse_direction_iPKiS5_PT2_S5_iPiS5_S8_21rocsparse_index_base_imNS_24const_host_device_scalarIfEENSA_IdEENSA_IS6_EEb,comdat
.Lfunc_end14:
	.size	_ZN9rocsparseL15bsrilu0_generalILj128ELj64ELb1E21rocsparse_complex_numIfEEEv20rocsparse_direction_iPKiS5_PT2_S5_iPiS5_S8_21rocsparse_index_base_imNS_24const_host_device_scalarIfEENSA_IdEENSA_IS6_EEb, .Lfunc_end14-_ZN9rocsparseL15bsrilu0_generalILj128ELj64ELb1E21rocsparse_complex_numIfEEEv20rocsparse_direction_iPKiS5_PT2_S5_iPiS5_S8_21rocsparse_index_base_imNS_24const_host_device_scalarIfEENSA_IdEENSA_IS6_EEb
                                        ; -- End function
	.section	.AMDGPU.csdata,"",@progbits
; Kernel info:
; codeLenInByte = 5208
; NumSgprs: 47
; NumVgprs: 39
; ScratchSize: 0
; MemoryBound: 0
; FloatMode: 240
; IeeeMode: 1
; LDSByteSize: 0 bytes/workgroup (compile time only)
; SGPRBlocks: 5
; VGPRBlocks: 4
; NumSGPRsForWavesPerEU: 47
; NumVGPRsForWavesPerEU: 39
; Occupancy: 16
; WaveLimiterHint : 1
; COMPUTE_PGM_RSRC2:SCRATCH_EN: 0
; COMPUTE_PGM_RSRC2:USER_SGPR: 15
; COMPUTE_PGM_RSRC2:TRAP_HANDLER: 0
; COMPUTE_PGM_RSRC2:TGID_X_EN: 1
; COMPUTE_PGM_RSRC2:TGID_Y_EN: 0
; COMPUTE_PGM_RSRC2:TGID_Z_EN: 0
; COMPUTE_PGM_RSRC2:TIDIG_COMP_CNT: 0
	.section	.text._ZN9rocsparseL15bsrilu0_generalILj128ELj32ELb0E21rocsparse_complex_numIfEEEv20rocsparse_direction_iPKiS5_PT2_S5_iPiS5_S8_21rocsparse_index_base_imNS_24const_host_device_scalarIfEENSA_IdEENSA_IS6_EEb,"axG",@progbits,_ZN9rocsparseL15bsrilu0_generalILj128ELj32ELb0E21rocsparse_complex_numIfEEEv20rocsparse_direction_iPKiS5_PT2_S5_iPiS5_S8_21rocsparse_index_base_imNS_24const_host_device_scalarIfEENSA_IdEENSA_IS6_EEb,comdat
	.globl	_ZN9rocsparseL15bsrilu0_generalILj128ELj32ELb0E21rocsparse_complex_numIfEEEv20rocsparse_direction_iPKiS5_PT2_S5_iPiS5_S8_21rocsparse_index_base_imNS_24const_host_device_scalarIfEENSA_IdEENSA_IS6_EEb ; -- Begin function _ZN9rocsparseL15bsrilu0_generalILj128ELj32ELb0E21rocsparse_complex_numIfEEEv20rocsparse_direction_iPKiS5_PT2_S5_iPiS5_S8_21rocsparse_index_base_imNS_24const_host_device_scalarIfEENSA_IdEENSA_IS6_EEb
	.p2align	8
	.type	_ZN9rocsparseL15bsrilu0_generalILj128ELj32ELb0E21rocsparse_complex_numIfEEEv20rocsparse_direction_iPKiS5_PT2_S5_iPiS5_S8_21rocsparse_index_base_imNS_24const_host_device_scalarIfEENSA_IdEENSA_IS6_EEb,@function
_ZN9rocsparseL15bsrilu0_generalILj128ELj32ELb0E21rocsparse_complex_numIfEEEv20rocsparse_direction_iPKiS5_PT2_S5_iPiS5_S8_21rocsparse_index_base_imNS_24const_host_device_scalarIfEENSA_IdEENSA_IS6_EEb: ; @_ZN9rocsparseL15bsrilu0_generalILj128ELj32ELb0E21rocsparse_complex_numIfEEEv20rocsparse_direction_iPKiS5_PT2_S5_iPiS5_S8_21rocsparse_index_base_imNS_24const_host_device_scalarIfEENSA_IdEENSA_IS6_EEb
; %bb.0:
	s_clause 0x2
	s_load_b32 s2, s[0:1], 0x70
	s_load_b64 s[24:25], s[0:1], 0x48
	s_load_b256 s[16:23], s[0:1], 0x50
	s_waitcnt lgkmcnt(0)
	s_bitcmp1_b32 s2, 0
	s_cselect_b32 s4, -1, 0
	s_cmp_lg_u32 s25, 0
	s_cselect_b32 s5, -1, 0
	s_cmp_eq_u32 s25, 0
	s_cselect_b32 s7, -1, 0
	s_delay_alu instid0(SALU_CYCLE_1) | instskip(SKIP_3) | instid1(SALU_CYCLE_1)
	s_and_b32 s2, s7, exec_lo
	s_cselect_b32 s2, 0, s20
	s_cselect_b32 s3, 0, s21
	s_or_b32 s6, s7, s4
	s_and_b32 vcc_lo, exec_lo, s6
	s_xor_b32 s6, s6, -1
	s_cbranch_vccnz .LBB15_2
; %bb.1:
	s_load_b32 s2, s[18:19], 0x0
	s_waitcnt lgkmcnt(0)
	v_mov_b32_e32 v25, s2
	s_mov_b64 s[2:3], s[20:21]
	s_delay_alu instid0(SALU_CYCLE_1)
	v_dual_mov_b32 v7, s3 :: v_dual_mov_b32 v6, s2
	s_and_not1_b32 vcc_lo, exec_lo, s6
	s_cbranch_vccz .LBB15_3
	s_branch .LBB15_4
.LBB15_2:
	v_cndmask_b32_e64 v25, s18, 0, s7
	v_dual_mov_b32 v7, s3 :: v_dual_mov_b32 v6, s2
	s_and_not1_b32 vcc_lo, exec_lo, s6
	s_cbranch_vccnz .LBB15_4
.LBB15_3:
	v_dual_mov_b32 v1, s20 :: v_dual_mov_b32 v2, s21
	flat_load_b64 v[6:7], v[1:2]
.LBB15_4:
	v_cndmask_b32_e64 v24, 0, 1, s5
	s_mov_b32 s26, 0
	s_and_not1_b32 vcc_lo, exec_lo, s5
	s_mov_b32 s25, s26
	s_cbranch_vccnz .LBB15_10
; %bb.5:
	s_xor_b32 s2, s4, -1
	s_mov_b32 s25, s22
	v_cndmask_b32_e64 v1, 0, 1, s2
	s_and_not1_b32 vcc_lo, exec_lo, s2
	s_cbranch_vccnz .LBB15_7
; %bb.6:
	s_load_b32 s25, s[22:23], 0x0
.LBB15_7:
	s_delay_alu instid0(VALU_DEP_1)
	v_cmp_ne_u32_e32 vcc_lo, 1, v1
	s_cbranch_vccnz .LBB15_9
; %bb.8:
	s_load_b32 s23, s[22:23], 0x4
.LBB15_9:
	s_waitcnt lgkmcnt(0)
	s_mov_b32 s26, s23
.LBB15_10:
	s_load_b64 s[20:21], s[0:1], 0x0
	v_lshrrev_b32_e32 v1, 5, v0
	s_lshl_b32 s2, s15, 2
	s_delay_alu instid0(VALU_DEP_1) | instid1(SALU_CYCLE_1)
	v_and_or_b32 v1, 0x7fffffc, s2, v1
	s_mov_b32 s2, exec_lo
	s_waitcnt lgkmcnt(0)
	s_delay_alu instid0(VALU_DEP_1)
	v_cmpx_gt_i32_e64 s21, v1
	s_cbranch_execz .LBB15_161
; %bb.11:
	s_clause 0x1
	s_load_b128 s[12:15], s[0:1], 0x30
	s_load_b64 s[18:19], s[0:1], 0x40
	v_lshlrev_b32_e32 v1, 2, v1
	s_load_b256 s[4:11], s[0:1], 0x8
	v_and_b32_e32 v0, 31, v0
	s_mov_b32 s2, -1
	s_waitcnt lgkmcnt(0)
	global_load_b32 v1, v1, s[14:15]
	s_mov_b32 s15, exec_lo
	s_waitcnt vmcnt(0)
	v_ashrrev_i32_e32 v2, 31, v1
	s_delay_alu instid0(VALU_DEP_1) | instskip(NEXT) | instid1(VALU_DEP_1)
	v_lshlrev_b64 v[2:3], 2, v[1:2]
	v_add_co_u32 v4, vcc_lo, s10, v2
	s_delay_alu instid0(VALU_DEP_2)
	v_add_co_ci_u32_e32 v5, vcc_lo, s11, v3, vcc_lo
	global_load_b32 v4, v[4:5], off
	s_waitcnt vmcnt(0)
	v_cmpx_ne_u32_e32 -1, v4
	s_cbranch_execz .LBB15_155
; %bb.12:
	v_add_co_u32 v8, vcc_lo, s4, v2
	v_add_co_ci_u32_e32 v9, vcc_lo, s5, v3, vcc_lo
	s_load_b32 s14, s[0:1], 0x28
	s_mov_b32 s3, 0
	s_mov_b32 s22, exec_lo
	global_load_b64 v[8:9], v[8:9], off
	s_waitcnt vmcnt(0)
	v_subrev_nc_u32_e32 v8, s24, v8
	v_subrev_nc_u32_e32 v23, s24, v9
	s_delay_alu instid0(VALU_DEP_2)
	v_cmpx_lt_i32_e64 v8, v4
	s_cbranch_execz .LBB15_84
; %bb.13:
	v_add_nc_u32_e32 v10, v8, v0
	s_waitcnt lgkmcnt(0)
	v_mad_u64_u32 v[13:14], null, s14, v8, v[0:1]
	s_cmp_gt_i32 s14, 0
	v_cmp_gt_i32_e64 s0, s14, v0
	v_ashrrev_i32_e32 v11, 31, v10
	s_cselect_b32 s23, -1, 0
	s_cmp_lg_u32 s20, 0
	v_cmp_le_i32_e64 s1, s14, v0
	s_delay_alu instid0(VALU_DEP_4)
	v_mul_lo_u32 v26, s14, v13
	v_lshlrev_b64 v[11:12], 2, v[10:11]
	s_cselect_b32 s28, -1, 0
	s_add_i32 s21, s21, 1
	v_cmp_lt_i32_e64 s2, v10, v23
	s_add_u32 s29, s4, 4
	s_addc_u32 s30, s5, 0
	v_add_co_u32 v11, vcc_lo, s6, v11
	v_add_co_ci_u32_e32 v12, vcc_lo, s7, v12, vcc_lo
	s_add_u32 s31, s6, 0x80
	s_mov_b32 s27, 0
	s_addc_u32 s33, s7, 0
	s_mul_i32 s34, s14, s14
	s_lshl_b32 s35, s14, 5
	s_mov_b32 s36, 0
                                        ; implicit-def: $sgpr37
                                        ; implicit-def: $sgpr38
	s_branch .LBB15_16
.LBB15_14:                              ;   in Loop: Header=BB15_16 Depth=1
	s_or_b32 exec_lo, exec_lo, s4
	s_delay_alu instid0(SALU_CYCLE_1) | instskip(SKIP_1) | instid1(SALU_CYCLE_1)
	s_and_not1_b32 s4, s38, exec_lo
	s_and_b32 s5, s27, exec_lo
	s_or_b32 s38, s4, s5
.LBB15_15:                              ;   in Loop: Header=BB15_16 Depth=1
	s_or_b32 exec_lo, exec_lo, s39
	v_add_nc_u32_e32 v8, 1, v8
	s_xor_b32 s3, s3, -1
	v_add_nc_u32_e32 v26, s34, v26
	s_mov_b32 s27, s38
	s_delay_alu instid0(VALU_DEP_2) | instskip(SKIP_1) | instid1(SALU_CYCLE_1)
	v_cmp_ge_i32_e32 vcc_lo, v8, v4
	s_or_b32 s3, s3, vcc_lo
	s_and_b32 s3, exec_lo, s3
	s_delay_alu instid0(SALU_CYCLE_1) | instskip(SKIP_2) | instid1(SALU_CYCLE_1)
	s_or_b32 s36, s3, s36
	s_and_not1_b32 s3, s37, exec_lo
	s_and_b32 s4, s38, exec_lo
	s_or_b32 s37, s3, s4
	s_and_not1_b32 exec_lo, exec_lo, s36
	s_cbranch_execz .LBB15_83
.LBB15_16:                              ; =>This Loop Header: Depth=1
                                        ;     Child Loop BB15_19 Depth 2
                                        ;     Child Loop BB15_24 Depth 2
                                        ;       Child Loop BB15_29 Depth 3
                                        ;         Child Loop BB15_39 Depth 4
                                        ;     Child Loop BB15_57 Depth 2
                                        ;       Child Loop BB15_62 Depth 3
                                        ;       Child Loop BB15_69 Depth 3
                                        ;         Child Loop BB15_72 Depth 4
                                        ;           Child Loop BB15_74 Depth 5
	v_ashrrev_i32_e32 v9, 31, v8
	s_or_b32 s38, s38, exec_lo
	s_delay_alu instid0(VALU_DEP_1) | instskip(NEXT) | instid1(VALU_DEP_1)
	v_lshlrev_b64 v[13:14], 2, v[8:9]
	v_add_co_u32 v13, vcc_lo, s6, v13
	s_delay_alu instid0(VALU_DEP_2) | instskip(SKIP_4) | instid1(VALU_DEP_1)
	v_add_co_ci_u32_e32 v14, vcc_lo, s7, v14, vcc_lo
	s_waitcnt lgkmcnt(0)
	global_load_b32 v5, v[13:14], off
	s_waitcnt vmcnt(0)
	v_subrev_nc_u32_e32 v13, s24, v5
	v_ashrrev_i32_e32 v14, 31, v13
	s_delay_alu instid0(VALU_DEP_1) | instskip(NEXT) | instid1(VALU_DEP_1)
	v_lshlrev_b64 v[13:14], 2, v[13:14]
	v_add_co_u32 v15, vcc_lo, s10, v13
	s_delay_alu instid0(VALU_DEP_2) | instskip(SKIP_3) | instid1(VALU_DEP_1)
	v_add_co_ci_u32_e32 v16, vcc_lo, s11, v14, vcc_lo
	global_load_b32 v28, v[15:16], off
	s_waitcnt vmcnt(0)
	v_cmp_ne_u32_e64 s3, -1, v28
	s_and_saveexec_b32 s39, s3
	s_cbranch_execz .LBB15_15
; %bb.17:                               ;   in Loop: Header=BB15_16 Depth=1
	v_add_co_u32 v15, vcc_lo, s29, v13
	v_add_co_ci_u32_e32 v16, vcc_lo, s30, v14, vcc_lo
	v_add_co_u32 v13, vcc_lo, s12, v13
	v_add_co_ci_u32_e32 v14, vcc_lo, s13, v14, vcc_lo
	s_mov_b32 s4, exec_lo
	global_load_b32 v29, v[15:16], off
	global_load_b32 v5, v[13:14], off glc
	s_waitcnt vmcnt(0)
	v_cmpx_eq_u32_e32 0, v5
	s_cbranch_execz .LBB15_20
; %bb.18:                               ;   in Loop: Header=BB15_16 Depth=1
	s_mov_b32 s5, 0
.LBB15_19:                              ;   Parent Loop BB15_16 Depth=1
                                        ; =>  This Inner Loop Header: Depth=2
	global_load_b32 v5, v[13:14], off glc
	s_waitcnt vmcnt(0)
	v_cmp_ne_u32_e32 vcc_lo, 0, v5
	s_or_b32 s5, vcc_lo, s5
	s_delay_alu instid0(SALU_CYCLE_1)
	s_and_not1_b32 exec_lo, exec_lo, s5
	s_cbranch_execnz .LBB15_19
.LBB15_20:                              ;   in Loop: Header=BB15_16 Depth=1
	s_or_b32 exec_lo, exec_lo, s4
	v_mul_lo_u32 v27, v8, s14
	s_and_not1_b32 vcc_lo, exec_lo, s23
	buffer_gl1_inv
	buffer_gl0_inv
	s_cbranch_vccnz .LBB15_53
; %bb.21:                               ;   in Loop: Header=BB15_16 Depth=1
	v_mul_lo_u32 v30, v28, s14
	v_mov_b32_e32 v5, 0
	s_mov_b32 s40, 0
	s_branch .LBB15_24
.LBB15_22:                              ;   in Loop: Header=BB15_24 Depth=2
	s_or_b32 exec_lo, exec_lo, s42
	v_mov_b32_e32 v5, v31
.LBB15_23:                              ;   in Loop: Header=BB15_24 Depth=2
	s_or_b32 exec_lo, exec_lo, s41
	s_delay_alu instid0(VALU_DEP_1) | instskip(SKIP_1) | instid1(SALU_CYCLE_1)
	v_cmp_eq_u32_e32 vcc_lo, s14, v5
	s_or_b32 s40, vcc_lo, s40
	s_and_not1_b32 exec_lo, exec_lo, s40
	s_cbranch_execz .LBB15_52
.LBB15_24:                              ;   Parent Loop BB15_16 Depth=1
                                        ; =>  This Loop Header: Depth=2
                                        ;       Child Loop BB15_29 Depth 3
                                        ;         Child Loop BB15_39 Depth 4
	s_delay_alu instid0(VALU_DEP_1) | instskip(SKIP_1) | instid1(SALU_CYCLE_1)
	v_add_nc_u32_e32 v31, 1, v5
	s_and_saveexec_b32 s4, s1
	s_xor_b32 s4, exec_lo, s4
; %bb.25:                               ;   in Loop: Header=BB15_24 Depth=2
	v_add_nc_u32_e32 v5, 1, v5
                                        ; implicit-def: $vgpr31
; %bb.26:                               ;   in Loop: Header=BB15_24 Depth=2
	s_and_not1_saveexec_b32 s41, s4
	s_cbranch_execz .LBB15_23
; %bb.27:                               ;   in Loop: Header=BB15_24 Depth=2
	s_delay_alu instid0(VALU_DEP_1) | instskip(SKIP_2) | instid1(VALU_DEP_2)
	v_dual_mov_b32 v34, v26 :: v_dual_add_nc_u32 v9, v5, v30
	v_cmp_gt_i32_e64 s4, s14, v31
	s_mov_b32 s42, 0
	v_mul_lo_u32 v32, v9, s14
	s_delay_alu instid0(VALU_DEP_1) | instskip(NEXT) | instid1(VALU_DEP_1)
	v_add_nc_u32_e32 v13, v32, v5
	v_ashrrev_i32_e32 v14, 31, v13
	s_delay_alu instid0(VALU_DEP_1) | instskip(NEXT) | instid1(VALU_DEP_1)
	v_lshlrev_b64 v[13:14], 3, v[13:14]
	v_add_co_u32 v13, vcc_lo, s8, v13
	s_delay_alu instid0(VALU_DEP_2) | instskip(SKIP_3) | instid1(VALU_DEP_1)
	v_add_co_ci_u32_e32 v14, vcc_lo, s9, v14, vcc_lo
	global_load_b64 v[13:14], v[13:14], off
	s_waitcnt vmcnt(0)
	v_mul_f32_e32 v9, v14, v14
	v_fmac_f32_e32 v9, v13, v13
	s_delay_alu instid0(VALU_DEP_1) | instskip(SKIP_1) | instid1(VALU_DEP_2)
	v_div_scale_f32 v15, null, v9, v9, 1.0
	v_div_scale_f32 v18, vcc_lo, 1.0, v9, 1.0
	v_rcp_f32_e32 v16, v15
	s_waitcnt_depctr 0xfff
	v_fma_f32 v17, -v15, v16, 1.0
	s_delay_alu instid0(VALU_DEP_1) | instskip(NEXT) | instid1(VALU_DEP_1)
	v_fmac_f32_e32 v16, v17, v16
	v_mul_f32_e32 v17, v18, v16
	s_delay_alu instid0(VALU_DEP_1) | instskip(NEXT) | instid1(VALU_DEP_1)
	v_fma_f32 v19, -v15, v17, v18
	v_fmac_f32_e32 v17, v19, v16
	s_delay_alu instid0(VALU_DEP_1) | instskip(SKIP_1) | instid1(VALU_DEP_2)
	v_fma_f32 v15, -v15, v17, v18
	v_add_nc_u32_e32 v18, v5, v27
	v_div_fmas_f32 v15, v15, v16, v17
	s_delay_alu instid0(VALU_DEP_2) | instskip(NEXT) | instid1(VALU_DEP_2)
	v_mul_lo_u32 v33, v18, s14
	v_div_fixup_f32 v35, v15, v9, 1.0
	v_mov_b32_e32 v9, v0
	s_branch .LBB15_29
.LBB15_28:                              ;   in Loop: Header=BB15_29 Depth=3
	s_or_b32 exec_lo, exec_lo, s43
	v_add_nc_u32_e32 v9, 32, v9
	v_add_nc_u32_e32 v34, s35, v34
	s_delay_alu instid0(VALU_DEP_2) | instskip(SKIP_1) | instid1(SALU_CYCLE_1)
	v_cmp_le_i32_e32 vcc_lo, s14, v9
	s_or_b32 s42, vcc_lo, s42
	s_and_not1_b32 exec_lo, exec_lo, s42
	s_cbranch_execz .LBB15_22
.LBB15_29:                              ;   Parent Loop BB15_16 Depth=1
                                        ;     Parent Loop BB15_24 Depth=2
                                        ; =>    This Loop Header: Depth=3
                                        ;         Child Loop BB15_39 Depth 4
	s_delay_alu instid0(VALU_DEP_1)
	v_add_nc_u32_e32 v15, v9, v33
	s_and_b32 vcc_lo, exec_lo, s28
	s_cbranch_vccz .LBB15_50
; %bb.30:                               ;   in Loop: Header=BB15_29 Depth=3
	v_add_nc_u32_e32 v16, v9, v33
	v_add_nc_u32_e32 v19, v9, v27
	s_cbranch_execnz .LBB15_32
.LBB15_31:                              ;   in Loop: Header=BB15_29 Depth=3
	s_delay_alu instid0(VALU_DEP_1)
	v_mad_u64_u32 v[16:17], null, v19, s14, v[5:6]
.LBB15_32:                              ;   in Loop: Header=BB15_29 Depth=3
	s_delay_alu instid0(VALU_DEP_1) | instskip(NEXT) | instid1(VALU_DEP_1)
	v_ashrrev_i32_e32 v17, 31, v16
	v_lshlrev_b64 v[16:17], 3, v[16:17]
	s_delay_alu instid0(VALU_DEP_1) | instskip(NEXT) | instid1(VALU_DEP_2)
	v_add_co_u32 v16, vcc_lo, s8, v16
	v_add_co_ci_u32_e32 v17, vcc_lo, s9, v17, vcc_lo
	s_and_b32 vcc_lo, exec_lo, s28
	global_load_b64 v[17:18], v[16:17], off
	s_cbranch_vccz .LBB15_51
; %bb.33:                               ;   in Loop: Header=BB15_29 Depth=3
	s_cbranch_execnz .LBB15_35
.LBB15_34:                              ;   in Loop: Header=BB15_29 Depth=3
	v_mad_u64_u32 v[15:16], null, v19, s14, v[5:6]
.LBB15_35:                              ;   in Loop: Header=BB15_29 Depth=3
	s_waitcnt vmcnt(0)
	v_mul_f32_e64 v20, v14, -v17
	s_delay_alu instid0(VALU_DEP_2) | instskip(NEXT) | instid1(VALU_DEP_2)
	v_ashrrev_i32_e32 v16, 31, v15
	v_fmac_f32_e32 v20, v18, v13
	v_mul_f32_e32 v19, v14, v18
	s_delay_alu instid0(VALU_DEP_1) | instskip(NEXT) | instid1(VALU_DEP_4)
	v_fmac_f32_e32 v19, v17, v13
	v_lshlrev_b64 v[17:18], 3, v[15:16]
	s_delay_alu instid0(VALU_DEP_2) | instskip(SKIP_1) | instid1(VALU_DEP_3)
	v_mul_f32_e32 v15, v35, v19
	v_mul_f32_e32 v16, v35, v20
	v_add_co_u32 v17, vcc_lo, s8, v17
	s_delay_alu instid0(VALU_DEP_4)
	v_add_co_ci_u32_e32 v18, vcc_lo, s9, v18, vcc_lo
	global_store_b64 v[17:18], v[15:16], off
	s_and_saveexec_b32 s43, s4
	s_cbranch_execz .LBB15_28
; %bb.36:                               ;   in Loop: Header=BB15_29 Depth=3
	v_mov_b32_e32 v36, v31
	s_mov_b32 s44, 0
	s_branch .LBB15_39
.LBB15_37:                              ;   in Loop: Header=BB15_39 Depth=4
	v_mov_b32_e32 v19, v38
.LBB15_38:                              ;   in Loop: Header=BB15_39 Depth=4
	s_delay_alu instid0(VALU_DEP_1)
	v_ashrrev_i32_e32 v20, 31, v19
	s_waitcnt vmcnt(0)
	v_fma_f32 v21, -v15, v17, v21
	v_fma_f32 v17, -v16, v17, v22
	v_add_nc_u32_e32 v36, 1, v36
	v_lshlrev_b64 v[19:20], 3, v[19:20]
	s_delay_alu instid0(VALU_DEP_4) | instskip(NEXT) | instid1(VALU_DEP_4)
	v_fmac_f32_e32 v21, v16, v18
	v_fma_f32 v22, -v15, v18, v17
	s_delay_alu instid0(VALU_DEP_4) | instskip(NEXT) | instid1(VALU_DEP_4)
	v_cmp_le_i32_e32 vcc_lo, s14, v36
	v_add_co_u32 v17, s5, s8, v19
	s_delay_alu instid0(VALU_DEP_1)
	v_add_co_ci_u32_e64 v18, s5, s9, v20, s5
	s_or_b32 s44, vcc_lo, s44
	global_store_b64 v[17:18], v[21:22], off
	s_and_not1_b32 exec_lo, exec_lo, s44
	s_cbranch_execz .LBB15_28
.LBB15_39:                              ;   Parent Loop BB15_16 Depth=1
                                        ;     Parent Loop BB15_24 Depth=2
                                        ;       Parent Loop BB15_29 Depth=3
                                        ; =>      This Inner Loop Header: Depth=4
	s_and_b32 vcc_lo, exec_lo, s28
	s_cbranch_vccz .LBB15_47
; %bb.40:                               ;   in Loop: Header=BB15_39 Depth=4
	v_add_nc_u32_e32 v19, v36, v30
	s_delay_alu instid0(VALU_DEP_1)
	v_mad_u64_u32 v[17:18], null, v19, s14, v[5:6]
	s_cbranch_execnz .LBB15_42
.LBB15_41:                              ;   in Loop: Header=BB15_39 Depth=4
	v_add_nc_u32_e32 v17, v32, v36
.LBB15_42:                              ;   in Loop: Header=BB15_39 Depth=4
	s_delay_alu instid0(VALU_DEP_1) | instskip(SKIP_1) | instid1(VALU_DEP_2)
	v_ashrrev_i32_e32 v18, 31, v17
	v_add_nc_u32_e32 v37, v36, v27
	v_lshlrev_b64 v[17:18], 3, v[17:18]
	s_delay_alu instid0(VALU_DEP_1) | instskip(NEXT) | instid1(VALU_DEP_2)
	v_add_co_u32 v17, vcc_lo, s8, v17
	v_add_co_ci_u32_e32 v18, vcc_lo, s9, v18, vcc_lo
	s_and_b32 vcc_lo, exec_lo, s28
	global_load_b64 v[17:18], v[17:18], off
	s_cbranch_vccz .LBB15_48
; %bb.43:                               ;   in Loop: Header=BB15_39 Depth=4
	v_mad_u64_u32 v[19:20], null, v37, s14, v[9:10]
	v_add_nc_u32_e32 v38, v34, v36
	s_cbranch_execnz .LBB15_45
.LBB15_44:                              ;   in Loop: Header=BB15_39 Depth=4
	v_add_nc_u32_e32 v19, v34, v36
.LBB15_45:                              ;   in Loop: Header=BB15_39 Depth=4
	s_delay_alu instid0(VALU_DEP_1) | instskip(NEXT) | instid1(VALU_DEP_1)
	v_ashrrev_i32_e32 v20, 31, v19
	v_lshlrev_b64 v[19:20], 3, v[19:20]
	s_delay_alu instid0(VALU_DEP_1) | instskip(NEXT) | instid1(VALU_DEP_2)
	v_add_co_u32 v19, vcc_lo, s8, v19
	v_add_co_ci_u32_e32 v20, vcc_lo, s9, v20, vcc_lo
	s_and_b32 vcc_lo, exec_lo, s28
	global_load_b64 v[21:22], v[19:20], off
	s_cbranch_vccz .LBB15_49
; %bb.46:                               ;   in Loop: Header=BB15_39 Depth=4
	v_mad_u64_u32 v[19:20], null, v37, s14, v[9:10]
	s_cbranch_execnz .LBB15_38
	s_branch .LBB15_37
.LBB15_47:                              ;   in Loop: Header=BB15_39 Depth=4
                                        ; implicit-def: $vgpr17
	s_branch .LBB15_41
.LBB15_48:                              ;   in Loop: Header=BB15_39 Depth=4
                                        ; implicit-def: $vgpr19
	v_add_nc_u32_e32 v38, v34, v36
	s_branch .LBB15_44
.LBB15_49:                              ;   in Loop: Header=BB15_39 Depth=4
                                        ; implicit-def: $vgpr19
	s_branch .LBB15_37
.LBB15_50:                              ;   in Loop: Header=BB15_29 Depth=3
                                        ; implicit-def: $vgpr16
	v_add_nc_u32_e32 v19, v9, v27
	s_branch .LBB15_31
.LBB15_51:                              ;   in Loop: Header=BB15_29 Depth=3
                                        ; implicit-def: $vgpr15
	s_branch .LBB15_34
.LBB15_52:                              ;   in Loop: Header=BB15_16 Depth=1
	s_or_b32 exec_lo, exec_lo, s40
.LBB15_53:                              ;   in Loop: Header=BB15_16 Depth=1
	v_subrev_nc_u32_e32 v9, s24, v29
	v_add_nc_u32_e32 v13, 1, v28
	s_mov_b32 s4, exec_lo
	s_delay_alu instid0(VALU_DEP_1)
	v_cmpx_lt_i32_e64 v13, v9
	s_cbranch_execz .LBB15_14
; %bb.54:                               ;   in Loop: Header=BB15_16 Depth=1
	v_mul_lo_u32 v18, s34, v13
	s_mov_b32 s5, 0
	s_branch .LBB15_57
.LBB15_55:                              ;   in Loop: Header=BB15_57 Depth=2
	s_or_b32 exec_lo, exec_lo, s40
.LBB15_56:                              ;   in Loop: Header=BB15_57 Depth=2
	v_add_nc_u32_e32 v13, 1, v13
	v_add_nc_u32_e32 v18, s34, v18
	s_delay_alu instid0(VALU_DEP_2) | instskip(SKIP_1) | instid1(SALU_CYCLE_1)
	v_cmp_ge_i32_e32 vcc_lo, v13, v9
	s_or_b32 s5, vcc_lo, s5
	s_and_not1_b32 exec_lo, exec_lo, s5
	s_cbranch_execz .LBB15_14
.LBB15_57:                              ;   Parent Loop BB15_16 Depth=1
                                        ; =>  This Loop Header: Depth=2
                                        ;       Child Loop BB15_62 Depth 3
                                        ;       Child Loop BB15_69 Depth 3
                                        ;         Child Loop BB15_72 Depth 4
                                        ;           Child Loop BB15_74 Depth 5
	v_ashrrev_i32_e32 v14, 31, v13
	s_delay_alu instid0(VALU_DEP_1) | instskip(NEXT) | instid1(VALU_DEP_1)
	v_lshlrev_b64 v[14:15], 2, v[13:14]
	v_add_co_u32 v14, vcc_lo, s6, v14
	s_delay_alu instid0(VALU_DEP_2)
	v_add_co_ci_u32_e32 v15, vcc_lo, s7, v15, vcc_lo
	s_waitcnt lgkmcnt(0)
	global_load_b32 v5, v[14:15], off
	v_mov_b32_e32 v15, s21
	s_and_saveexec_b32 s40, s2
	s_cbranch_execz .LBB15_59
; %bb.58:                               ;   in Loop: Header=BB15_57 Depth=2
	global_load_b32 v14, v[11:12], off
	s_waitcnt vmcnt(0)
	v_subrev_nc_u32_e32 v15, s24, v14
.LBB15_59:                              ;   in Loop: Header=BB15_57 Depth=2
	s_or_b32 exec_lo, exec_lo, s40
	s_waitcnt vmcnt(0)
	v_subrev_nc_u32_e32 v5, s24, v5
	v_mov_b32_e32 v16, v10
	s_mov_b32 s40, exec_lo
	s_delay_alu instid0(VALU_DEP_2)
	v_cmpx_lt_i32_e64 v15, v5
	s_cbranch_execz .LBB15_65
; %bb.60:                               ;   in Loop: Header=BB15_57 Depth=2
	v_mov_b32_e32 v14, v10
	s_mov_b32 s41, 0
	s_branch .LBB15_62
	.p2align	6
.LBB15_61:                              ;   in Loop: Header=BB15_62 Depth=3
	s_or_b32 exec_lo, exec_lo, s42
	s_delay_alu instid0(VALU_DEP_1) | instskip(SKIP_2) | instid1(SALU_CYCLE_1)
	v_cmp_ge_i32_e32 vcc_lo, v15, v5
	v_mov_b32_e32 v14, v16
	s_or_b32 s41, vcc_lo, s41
	s_and_not1_b32 exec_lo, exec_lo, s41
	s_cbranch_execz .LBB15_64
.LBB15_62:                              ;   Parent Loop BB15_16 Depth=1
                                        ;     Parent Loop BB15_57 Depth=2
                                        ; =>    This Inner Loop Header: Depth=3
	s_delay_alu instid0(VALU_DEP_1) | instskip(SKIP_1) | instid1(VALU_DEP_1)
	v_dual_mov_b32 v15, s21 :: v_dual_add_nc_u32 v16, 32, v14
	s_mov_b32 s42, exec_lo
	v_cmpx_lt_i32_e64 v16, v23
	s_cbranch_execz .LBB15_61
; %bb.63:                               ;   in Loop: Header=BB15_62 Depth=3
	v_ashrrev_i32_e32 v15, 31, v14
	s_delay_alu instid0(VALU_DEP_1) | instskip(NEXT) | instid1(VALU_DEP_1)
	v_lshlrev_b64 v[14:15], 2, v[14:15]
	v_add_co_u32 v14, vcc_lo, s31, v14
	s_delay_alu instid0(VALU_DEP_2)
	v_add_co_ci_u32_e32 v15, vcc_lo, s33, v15, vcc_lo
	global_load_b32 v14, v[14:15], off
	s_waitcnt vmcnt(0)
	v_subrev_nc_u32_e32 v15, s24, v14
	s_branch .LBB15_61
.LBB15_64:                              ;   in Loop: Header=BB15_57 Depth=2
	s_or_b32 exec_lo, exec_lo, s41
.LBB15_65:                              ;   in Loop: Header=BB15_57 Depth=2
	s_delay_alu instid0(SALU_CYCLE_1)
	s_or_b32 exec_lo, exec_lo, s40
	v_cmp_eq_u32_e32 vcc_lo, v15, v5
	s_cbranch_vccz .LBB15_56
; %bb.66:                               ;   in Loop: Header=BB15_57 Depth=2
	s_ctz_i32_b32 s40, vcc_lo
	s_delay_alu instid0(SALU_CYCLE_1) | instskip(NEXT) | instid1(SALU_CYCLE_1)
	s_lshl_b32 s40, s40, 2
	v_mov_b32_e32 v5, s40
	ds_bpermute_b32 v5, v5, v16
	s_and_saveexec_b32 s40, s0
	s_cbranch_execz .LBB15_55
; %bb.67:                               ;   in Loop: Header=BB15_57 Depth=2
	v_mul_lo_u32 v19, v13, s14
	s_waitcnt lgkmcnt(0)
	v_mul_lo_u32 v20, v5, s14
	v_mov_b32_e32 v21, v26
	v_mov_b32_e32 v5, v0
	s_mov_b32 s41, 0
	s_branch .LBB15_69
.LBB15_68:                              ;   in Loop: Header=BB15_69 Depth=3
	v_add_nc_u32_e32 v5, 32, v5
	v_add_nc_u32_e32 v21, s35, v21
	s_delay_alu instid0(VALU_DEP_2) | instskip(SKIP_1) | instid1(SALU_CYCLE_1)
	v_cmp_le_i32_e32 vcc_lo, s14, v5
	s_or_b32 s41, vcc_lo, s41
	s_and_not1_b32 exec_lo, exec_lo, s41
	s_cbranch_execz .LBB15_55
.LBB15_69:                              ;   Parent Loop BB15_16 Depth=1
                                        ;     Parent Loop BB15_57 Depth=2
                                        ; =>    This Loop Header: Depth=3
                                        ;         Child Loop BB15_72 Depth 4
                                        ;           Child Loop BB15_74 Depth 5
	s_delay_alu instid0(VALU_DEP_1) | instskip(SKIP_2) | instid1(VALU_DEP_2)
	v_add_nc_u32_e32 v14, v5, v20
	v_mov_b32_e32 v28, v18
	s_mov_b32 s42, 0
	v_mul_lo_u32 v22, v14, s14
	s_branch .LBB15_72
.LBB15_70:                              ;   in Loop: Header=BB15_72 Depth=4
	v_add_nc_u32_e32 v14, s42, v22
.LBB15_71:                              ;   in Loop: Header=BB15_72 Depth=4
	s_delay_alu instid0(VALU_DEP_1) | instskip(SKIP_2) | instid1(SALU_CYCLE_1)
	v_ashrrev_i32_e32 v15, 31, v14
	v_add_nc_u32_e32 v28, 1, v28
	s_add_i32 s42, s42, 1
	s_cmp_eq_u32 s42, s14
	s_delay_alu instid0(VALU_DEP_2) | instskip(NEXT) | instid1(VALU_DEP_1)
	v_lshlrev_b64 v[14:15], 3, v[14:15]
	v_add_co_u32 v14, vcc_lo, s8, v14
	s_delay_alu instid0(VALU_DEP_2)
	v_add_co_ci_u32_e32 v15, vcc_lo, s9, v15, vcc_lo
	global_load_b64 v[16:17], v[14:15], off
	s_waitcnt vmcnt(0)
	v_dual_sub_f32 v16, v16, v29 :: v_dual_sub_f32 v17, v17, v30
	global_store_b64 v[14:15], v[16:17], off
	s_cbranch_scc1 .LBB15_68
.LBB15_72:                              ;   Parent Loop BB15_16 Depth=1
                                        ;     Parent Loop BB15_57 Depth=2
                                        ;       Parent Loop BB15_69 Depth=3
                                        ; =>      This Loop Header: Depth=4
                                        ;           Child Loop BB15_74 Depth 5
	v_dual_mov_b32 v29, 0 :: v_dual_add_nc_u32 v14, s42, v19
	v_mov_b32_e32 v32, v28
	v_mov_b32_e32 v30, 0
	s_mov_b32 s43, 0
	s_delay_alu instid0(VALU_DEP_3)
	v_mul_lo_u32 v31, v14, s14
	s_set_inst_prefetch_distance 0x1
	s_branch .LBB15_74
	.p2align	6
.LBB15_73:                              ;   in Loop: Header=BB15_74 Depth=5
	s_delay_alu instid0(VALU_DEP_1) | instskip(SKIP_2) | instid1(SALU_CYCLE_1)
	v_ashrrev_i32_e32 v17, 31, v16
	v_add_nc_u32_e32 v32, s14, v32
	s_add_i32 s43, s43, 1
	s_cmp_eq_u32 s14, s43
	s_delay_alu instid0(VALU_DEP_2) | instskip(NEXT) | instid1(VALU_DEP_1)
	v_lshlrev_b64 v[16:17], 3, v[16:17]
	v_add_co_u32 v16, vcc_lo, s8, v16
	s_delay_alu instid0(VALU_DEP_2) | instskip(SKIP_4) | instid1(VALU_DEP_2)
	v_add_co_ci_u32_e32 v17, vcc_lo, s9, v17, vcc_lo
	global_load_b64 v[16:17], v[16:17], off
	s_waitcnt vmcnt(0)
	v_fmac_f32_e32 v29, v14, v16
	v_fmac_f32_e32 v30, v15, v16
	v_fma_f32 v29, -v15, v17, v29
	s_delay_alu instid0(VALU_DEP_2)
	v_fmac_f32_e32 v30, v14, v17
	s_cbranch_scc1 .LBB15_80
.LBB15_74:                              ;   Parent Loop BB15_16 Depth=1
                                        ;     Parent Loop BB15_57 Depth=2
                                        ;       Parent Loop BB15_69 Depth=3
                                        ;         Parent Loop BB15_72 Depth=4
                                        ; =>        This Inner Loop Header: Depth=5
	s_and_b32 vcc_lo, exec_lo, s28
	s_cbranch_vccz .LBB15_79
; %bb.75:                               ;   in Loop: Header=BB15_74 Depth=5
	v_add_nc_u32_e32 v16, s43, v27
	s_delay_alu instid0(VALU_DEP_1)
	v_mad_u64_u32 v[14:15], null, v16, s14, v[5:6]
	s_cbranch_execnz .LBB15_77
.LBB15_76:                              ;   in Loop: Header=BB15_74 Depth=5
	v_add_nc_u32_e32 v14, s43, v21
.LBB15_77:                              ;   in Loop: Header=BB15_74 Depth=5
	s_delay_alu instid0(VALU_DEP_1) | instskip(SKIP_1) | instid1(VALU_DEP_2)
	v_ashrrev_i32_e32 v15, 31, v14
	v_mov_b32_e32 v16, v32
	v_lshlrev_b64 v[14:15], 3, v[14:15]
	s_delay_alu instid0(VALU_DEP_1) | instskip(NEXT) | instid1(VALU_DEP_2)
	v_add_co_u32 v14, vcc_lo, s8, v14
	v_add_co_ci_u32_e32 v15, vcc_lo, s9, v15, vcc_lo
	s_and_not1_b32 vcc_lo, exec_lo, s28
	global_load_b64 v[14:15], v[14:15], off
	s_cbranch_vccnz .LBB15_73
; %bb.78:                               ;   in Loop: Header=BB15_74 Depth=5
	v_add_nc_u32_e32 v16, s43, v31
	s_branch .LBB15_73
.LBB15_79:                              ;   in Loop: Header=BB15_74 Depth=5
                                        ; implicit-def: $vgpr14
	s_branch .LBB15_76
.LBB15_80:                              ;   in Loop: Header=BB15_72 Depth=4
	s_set_inst_prefetch_distance 0x2
	s_and_b32 vcc_lo, exec_lo, s28
	s_cbranch_vccz .LBB15_82
; %bb.81:                               ;   in Loop: Header=BB15_72 Depth=4
	v_add_nc_u32_e32 v16, s42, v20
	s_delay_alu instid0(VALU_DEP_1)
	v_mad_u64_u32 v[14:15], null, v16, s14, v[5:6]
	s_cbranch_execnz .LBB15_71
	s_branch .LBB15_70
.LBB15_82:                              ;   in Loop: Header=BB15_72 Depth=4
                                        ; implicit-def: $vgpr14
	s_branch .LBB15_70
.LBB15_83:
	s_or_b32 exec_lo, exec_lo, s36
	s_delay_alu instid0(SALU_CYCLE_1)
	s_and_b32 s3, s37, exec_lo
.LBB15_84:
	s_or_b32 exec_lo, exec_lo, s22
	s_waitcnt lgkmcnt(0)
	v_ashrrev_i32_e32 v5, 31, v4
	s_cmp_gt_i32 s14, 0
	s_cselect_b32 s4, -1, 0
	s_delay_alu instid0(VALU_DEP_1) | instskip(NEXT) | instid1(VALU_DEP_1)
	v_lshlrev_b64 v[8:9], 2, v[4:5]
	v_add_co_u32 v8, vcc_lo, s6, v8
	s_delay_alu instid0(VALU_DEP_2) | instskip(SKIP_4) | instid1(VALU_DEP_1)
	v_add_co_ci_u32_e32 v9, vcc_lo, s7, v9, vcc_lo
	s_mov_b32 s6, 0
	global_load_b32 v5, v[8:9], off
	s_waitcnt vmcnt(0)
	v_subrev_nc_u32_e32 v5, s24, v5
	v_cmp_eq_u32_e32 vcc_lo, v5, v1
	s_and_b32 s0, s4, vcc_lo
	s_delay_alu instid0(SALU_CYCLE_1)
	s_and_saveexec_b32 s5, s0
	s_cbranch_execz .LBB15_130
; %bb.85:
	v_cvt_f64_f32_e32 v[8:9], v25
	v_mul_lo_u32 v19, v4, s14
	s_cmp_eq_u64 s[16:17], 8
	v_cmp_eq_u32_e64 s0, 0, v0
	s_cselect_b32 vcc_lo, -1, 0
	v_mov_b32_e32 v5, 0
	s_cmp_lg_u32 s20, 0
	s_mov_b32 s16, s3
	s_cselect_b32 s7, -1, 0
	v_add3_u32 v20, v19, v0, 1
	s_lshl_b32 s10, s14, 5
                                        ; implicit-def: $sgpr11
	v_dual_cndmask_b32 v7, v9, v7 :: v_dual_cndmask_b32 v6, v8, v6
	s_branch .LBB15_87
.LBB15_86:                              ;   in Loop: Header=BB15_87 Depth=1
	s_or_b32 exec_lo, exec_lo, s1
	s_delay_alu instid0(VALU_DEP_1) | instskip(SKIP_4) | instid1(SALU_CYCLE_1)
	v_cmp_eq_u32_e32 vcc_lo, s14, v22
	v_mov_b32_e32 v5, v22
	s_or_b32 s6, vcc_lo, s6
	s_and_not1_b32 s1, s11, exec_lo
	s_and_b32 s2, s16, exec_lo
	s_or_b32 s11, s1, s2
	s_and_not1_b32 exec_lo, exec_lo, s6
	s_cbranch_execz .LBB15_129
.LBB15_87:                              ; =>This Loop Header: Depth=1
                                        ;     Child Loop BB15_103 Depth 2
                                        ;       Child Loop BB15_113 Depth 3
	v_add_nc_u32_e32 v8, v5, v19
	s_mov_b32 s17, 0
	s_delay_alu instid0(VALU_DEP_1) | instskip(NEXT) | instid1(VALU_DEP_1)
	v_mul_lo_u32 v21, v8, s14
	v_add_nc_u32_e32 v8, v21, v5
	s_delay_alu instid0(VALU_DEP_1) | instskip(NEXT) | instid1(VALU_DEP_1)
	v_ashrrev_i32_e32 v9, 31, v8
	v_lshlrev_b64 v[8:9], 3, v[8:9]
	s_delay_alu instid0(VALU_DEP_1) | instskip(NEXT) | instid1(VALU_DEP_2)
	v_add_co_u32 v10, vcc_lo, s8, v8
	v_add_co_ci_u32_e32 v11, vcc_lo, s9, v9, vcc_lo
	v_cmp_ne_u32_e32 vcc_lo, 1, v24
	global_load_b64 v[8:9], v[10:11], off
	s_cbranch_vccnz .LBB15_98
; %bb.88:                               ;   in Loop: Header=BB15_87 Depth=1
	s_waitcnt vmcnt(0)
	v_cmp_gt_f32_e32 vcc_lo, 0, v8
                                        ; implicit-def: $vgpr14
	s_mov_b32 s1, exec_lo
	v_cndmask_b32_e64 v12, v8, -v8, vcc_lo
	v_cmp_gt_f32_e32 vcc_lo, 0, v9
	v_cndmask_b32_e64 v13, v9, -v9, vcc_lo
	s_delay_alu instid0(VALU_DEP_1)
	v_cmpx_ngt_f32_e32 v12, v13
	s_xor_b32 s2, exec_lo, s1
	s_cbranch_execz .LBB15_92
; %bb.89:                               ;   in Loop: Header=BB15_87 Depth=1
	v_mov_b32_e32 v14, 0
	s_mov_b32 s21, exec_lo
	v_cmpx_neq_f32_e32 0, v9
	s_cbranch_execz .LBB15_91
; %bb.90:                               ;   in Loop: Header=BB15_87 Depth=1
	v_div_scale_f32 v14, null, v13, v13, v12
	v_div_scale_f32 v17, vcc_lo, v12, v13, v12
	s_delay_alu instid0(VALU_DEP_2) | instskip(SKIP_2) | instid1(VALU_DEP_1)
	v_rcp_f32_e32 v15, v14
	s_waitcnt_depctr 0xfff
	v_fma_f32 v16, -v14, v15, 1.0
	v_fmac_f32_e32 v15, v16, v15
	s_delay_alu instid0(VALU_DEP_1) | instskip(NEXT) | instid1(VALU_DEP_1)
	v_mul_f32_e32 v16, v17, v15
	v_fma_f32 v18, -v14, v16, v17
	s_delay_alu instid0(VALU_DEP_1) | instskip(NEXT) | instid1(VALU_DEP_1)
	v_fmac_f32_e32 v16, v18, v15
	v_fma_f32 v14, -v14, v16, v17
	s_delay_alu instid0(VALU_DEP_1) | instskip(NEXT) | instid1(VALU_DEP_1)
	v_div_fmas_f32 v14, v14, v15, v16
	v_div_fixup_f32 v12, v14, v13, v12
	s_delay_alu instid0(VALU_DEP_1) | instskip(NEXT) | instid1(VALU_DEP_1)
	v_fma_f32 v12, v12, v12, 1.0
	v_mul_f32_e32 v14, 0x4f800000, v12
	v_cmp_gt_f32_e32 vcc_lo, 0xf800000, v12
	s_delay_alu instid0(VALU_DEP_2) | instskip(NEXT) | instid1(VALU_DEP_1)
	v_cndmask_b32_e32 v12, v12, v14, vcc_lo
	v_sqrt_f32_e32 v14, v12
	s_waitcnt_depctr 0xfff
	v_add_nc_u32_e32 v15, -1, v14
	v_add_nc_u32_e32 v16, 1, v14
	s_delay_alu instid0(VALU_DEP_2) | instskip(NEXT) | instid1(VALU_DEP_2)
	v_fma_f32 v17, -v15, v14, v12
	v_fma_f32 v18, -v16, v14, v12
	s_delay_alu instid0(VALU_DEP_2) | instskip(NEXT) | instid1(VALU_DEP_1)
	v_cmp_ge_f32_e64 s1, 0, v17
	v_cndmask_b32_e64 v14, v14, v15, s1
	s_delay_alu instid0(VALU_DEP_3) | instskip(NEXT) | instid1(VALU_DEP_1)
	v_cmp_lt_f32_e64 s1, 0, v18
	v_cndmask_b32_e64 v14, v14, v16, s1
	s_delay_alu instid0(VALU_DEP_1) | instskip(NEXT) | instid1(VALU_DEP_1)
	v_mul_f32_e32 v15, 0x37800000, v14
	v_cndmask_b32_e32 v14, v14, v15, vcc_lo
	v_cmp_class_f32_e64 vcc_lo, v12, 0x260
	s_delay_alu instid0(VALU_DEP_2) | instskip(NEXT) | instid1(VALU_DEP_1)
	v_cndmask_b32_e32 v12, v14, v12, vcc_lo
	v_mul_f32_e32 v14, v13, v12
.LBB15_91:                              ;   in Loop: Header=BB15_87 Depth=1
	s_or_b32 exec_lo, exec_lo, s21
                                        ; implicit-def: $vgpr12
                                        ; implicit-def: $vgpr13
.LBB15_92:                              ;   in Loop: Header=BB15_87 Depth=1
	s_and_not1_saveexec_b32 s2, s2
	s_cbranch_execz .LBB15_94
; %bb.93:                               ;   in Loop: Header=BB15_87 Depth=1
	v_div_scale_f32 v14, null, v12, v12, v13
	v_div_scale_f32 v17, vcc_lo, v13, v12, v13
	s_delay_alu instid0(VALU_DEP_2) | instskip(SKIP_2) | instid1(VALU_DEP_1)
	v_rcp_f32_e32 v15, v14
	s_waitcnt_depctr 0xfff
	v_fma_f32 v16, -v14, v15, 1.0
	v_fmac_f32_e32 v15, v16, v15
	s_delay_alu instid0(VALU_DEP_1) | instskip(NEXT) | instid1(VALU_DEP_1)
	v_mul_f32_e32 v16, v17, v15
	v_fma_f32 v18, -v14, v16, v17
	s_delay_alu instid0(VALU_DEP_1) | instskip(NEXT) | instid1(VALU_DEP_1)
	v_fmac_f32_e32 v16, v18, v15
	v_fma_f32 v14, -v14, v16, v17
	s_delay_alu instid0(VALU_DEP_1) | instskip(NEXT) | instid1(VALU_DEP_1)
	v_div_fmas_f32 v14, v14, v15, v16
	v_div_fixup_f32 v13, v14, v12, v13
	s_delay_alu instid0(VALU_DEP_1) | instskip(NEXT) | instid1(VALU_DEP_1)
	v_fma_f32 v13, v13, v13, 1.0
	v_mul_f32_e32 v14, 0x4f800000, v13
	v_cmp_gt_f32_e32 vcc_lo, 0xf800000, v13
	s_delay_alu instid0(VALU_DEP_2) | instskip(NEXT) | instid1(VALU_DEP_1)
	v_cndmask_b32_e32 v13, v13, v14, vcc_lo
	v_sqrt_f32_e32 v14, v13
	s_waitcnt_depctr 0xfff
	v_add_nc_u32_e32 v15, -1, v14
	v_add_nc_u32_e32 v16, 1, v14
	s_delay_alu instid0(VALU_DEP_2) | instskip(NEXT) | instid1(VALU_DEP_2)
	v_fma_f32 v17, -v15, v14, v13
	v_fma_f32 v18, -v16, v14, v13
	s_delay_alu instid0(VALU_DEP_2) | instskip(NEXT) | instid1(VALU_DEP_1)
	v_cmp_ge_f32_e64 s1, 0, v17
	v_cndmask_b32_e64 v14, v14, v15, s1
	s_delay_alu instid0(VALU_DEP_3) | instskip(NEXT) | instid1(VALU_DEP_1)
	v_cmp_lt_f32_e64 s1, 0, v18
	v_cndmask_b32_e64 v14, v14, v16, s1
	s_delay_alu instid0(VALU_DEP_1) | instskip(NEXT) | instid1(VALU_DEP_1)
	v_mul_f32_e32 v15, 0x37800000, v14
	v_cndmask_b32_e32 v14, v14, v15, vcc_lo
	v_cmp_class_f32_e64 vcc_lo, v13, 0x260
	s_delay_alu instid0(VALU_DEP_2) | instskip(NEXT) | instid1(VALU_DEP_1)
	v_cndmask_b32_e32 v13, v14, v13, vcc_lo
	v_mul_f32_e32 v14, v12, v13
.LBB15_94:                              ;   in Loop: Header=BB15_87 Depth=1
	s_or_b32 exec_lo, exec_lo, s2
	s_delay_alu instid0(VALU_DEP_1) | instskip(NEXT) | instid1(VALU_DEP_1)
	v_cvt_f64_f32_e32 v[12:13], v14
	v_cmp_ge_f64_e32 vcc_lo, v[6:7], v[12:13]
	v_cndmask_b32_e64 v12, v8, s25, vcc_lo
	v_cndmask_b32_e64 v13, v9, s26, vcc_lo
	s_and_saveexec_b32 s1, s0
	s_cbranch_execz .LBB15_96
; %bb.95:                               ;   in Loop: Header=BB15_87 Depth=1
	global_store_b64 v[10:11], v[12:13], off
.LBB15_96:                              ;   in Loop: Header=BB15_87 Depth=1
	s_or_b32 exec_lo, exec_lo, s1
	s_mov_b32 s2, -1
.LBB15_97:                              ;   in Loop: Header=BB15_87 Depth=1
	s_waitcnt vmcnt(0)
	v_dual_mov_b32 v8, v12 :: v_dual_mov_b32 v9, v13
                                        ; implicit-def: $sgpr1
                                        ; implicit-def: $vgpr22
	s_and_saveexec_b32 s21, s2
	s_delay_alu instid0(SALU_CYCLE_1)
	s_xor_b32 s21, exec_lo, s21
	s_cbranch_execz .LBB15_127
	s_branch .LBB15_100
.LBB15_98:                              ;   in Loop: Header=BB15_87 Depth=1
	s_mov_b32 s2, 0
                                        ; implicit-def: $vgpr12
	s_cbranch_execz .LBB15_97
; %bb.99:                               ;   in Loop: Header=BB15_87 Depth=1
	s_waitcnt vmcnt(0)
	v_cmp_neq_f32_e32 vcc_lo, 0, v8
	v_cmp_neq_f32_e64 s1, 0, v9
	s_and_not1_b32 s2, s2, exec_lo
	s_mov_b32 s17, -1
	s_delay_alu instid0(VALU_DEP_1) | instskip(NEXT) | instid1(SALU_CYCLE_1)
	s_or_b32 s1, vcc_lo, s1
	s_and_b32 s1, s1, exec_lo
	s_delay_alu instid0(SALU_CYCLE_1) | instskip(NEXT) | instid1(SALU_CYCLE_1)
	s_or_b32 s2, s2, s1
                                        ; implicit-def: $sgpr1
                                        ; implicit-def: $vgpr22
	s_and_saveexec_b32 s21, s2
	s_delay_alu instid0(SALU_CYCLE_1)
	s_xor_b32 s21, exec_lo, s21
	s_cbranch_execz .LBB15_127
.LBB15_100:                             ;   in Loop: Header=BB15_87 Depth=1
	v_add_nc_u32_e32 v22, 1, v5
	s_mov_b32 s22, exec_lo
	s_delay_alu instid0(VALU_DEP_1) | instskip(NEXT) | instid1(VALU_DEP_1)
	v_add_nc_u32_e32 v10, v22, v0
	v_cmpx_gt_i32_e64 s14, v10
	s_cbranch_execz .LBB15_126
; %bb.101:                              ;   in Loop: Header=BB15_87 Depth=1
	v_mul_f32_e32 v11, v9, v9
	v_cmp_gt_i32_e64 s1, s14, v22
	s_mov_b32 s23, 0
	s_delay_alu instid0(VALU_DEP_2) | instskip(NEXT) | instid1(VALU_DEP_1)
	v_fmac_f32_e32 v11, v8, v8
	v_div_scale_f32 v12, null, v11, v11, 1.0
	v_div_scale_f32 v15, vcc_lo, 1.0, v11, 1.0
	s_delay_alu instid0(VALU_DEP_2) | instskip(SKIP_2) | instid1(VALU_DEP_1)
	v_rcp_f32_e32 v13, v12
	s_waitcnt_depctr 0xfff
	v_fma_f32 v14, -v12, v13, 1.0
	v_fmac_f32_e32 v13, v14, v13
	s_delay_alu instid0(VALU_DEP_1) | instskip(NEXT) | instid1(VALU_DEP_1)
	v_mul_f32_e32 v14, v15, v13
	v_fma_f32 v16, -v12, v14, v15
	s_delay_alu instid0(VALU_DEP_1) | instskip(NEXT) | instid1(VALU_DEP_1)
	v_fmac_f32_e32 v14, v16, v13
	v_fma_f32 v12, -v12, v14, v15
	v_add_nc_u32_e32 v15, v20, v5
	s_delay_alu instid0(VALU_DEP_2) | instskip(NEXT) | instid1(VALU_DEP_2)
	v_div_fmas_f32 v12, v12, v13, v14
	v_mul_lo_u32 v25, s14, v15
	s_delay_alu instid0(VALU_DEP_2)
	v_div_fixup_f32 v26, v12, v11, 1.0
	s_branch .LBB15_103
.LBB15_102:                             ;   in Loop: Header=BB15_103 Depth=2
	s_or_b32 exec_lo, exec_lo, s27
	v_add_nc_u32_e32 v10, 32, v10
	v_add_nc_u32_e32 v25, s10, v25
	s_delay_alu instid0(VALU_DEP_2) | instskip(SKIP_1) | instid1(SALU_CYCLE_1)
	v_cmp_le_i32_e32 vcc_lo, s14, v10
	s_or_b32 s23, vcc_lo, s23
	s_and_not1_b32 exec_lo, exec_lo, s23
	s_cbranch_execz .LBB15_126
.LBB15_103:                             ;   Parent Loop BB15_87 Depth=1
                                        ; =>  This Loop Header: Depth=2
                                        ;       Child Loop BB15_113 Depth 3
	v_add_nc_u32_e32 v11, v10, v21
	s_and_b32 vcc_lo, exec_lo, s7
	s_cbranch_vccz .LBB15_124
; %bb.104:                              ;   in Loop: Header=BB15_103 Depth=2
	v_add_nc_u32_e32 v12, v10, v21
	s_cbranch_execnz .LBB15_106
.LBB15_105:                             ;   in Loop: Header=BB15_103 Depth=2
	v_add_nc_u32_e32 v14, v10, v19
	s_delay_alu instid0(VALU_DEP_1)
	v_mad_u64_u32 v[12:13], null, v14, s14, v[5:6]
.LBB15_106:                             ;   in Loop: Header=BB15_103 Depth=2
	s_delay_alu instid0(VALU_DEP_1) | instskip(NEXT) | instid1(VALU_DEP_1)
	v_ashrrev_i32_e32 v13, 31, v12
	v_lshlrev_b64 v[12:13], 3, v[12:13]
	s_delay_alu instid0(VALU_DEP_1) | instskip(NEXT) | instid1(VALU_DEP_2)
	v_add_co_u32 v12, vcc_lo, s8, v12
	v_add_co_ci_u32_e32 v13, vcc_lo, s9, v13, vcc_lo
	s_and_b32 vcc_lo, exec_lo, s7
	global_load_b64 v[13:14], v[12:13], off
	s_cbranch_vccz .LBB15_125
; %bb.107:                              ;   in Loop: Header=BB15_103 Depth=2
	s_cbranch_execnz .LBB15_109
.LBB15_108:                             ;   in Loop: Header=BB15_103 Depth=2
	v_add_nc_u32_e32 v15, v10, v19
	s_delay_alu instid0(VALU_DEP_1)
	v_mad_u64_u32 v[11:12], null, v15, s14, v[5:6]
.LBB15_109:                             ;   in Loop: Header=BB15_103 Depth=2
	s_waitcnt vmcnt(0)
	v_mul_f32_e64 v16, v9, -v13
	v_mul_f32_e32 v15, v9, v14
	s_delay_alu instid0(VALU_DEP_3) | instskip(NEXT) | instid1(VALU_DEP_3)
	v_ashrrev_i32_e32 v12, 31, v11
	v_fmac_f32_e32 v16, v14, v8
	s_delay_alu instid0(VALU_DEP_3) | instskip(NEXT) | instid1(VALU_DEP_3)
	v_fmac_f32_e32 v15, v13, v8
	v_lshlrev_b64 v[13:14], 3, v[11:12]
	s_delay_alu instid0(VALU_DEP_3) | instskip(NEXT) | instid1(VALU_DEP_3)
	v_mul_f32_e32 v12, v26, v16
	v_mul_f32_e32 v11, v26, v15
	s_delay_alu instid0(VALU_DEP_3) | instskip(NEXT) | instid1(VALU_DEP_4)
	v_add_co_u32 v13, vcc_lo, s8, v13
	v_add_co_ci_u32_e32 v14, vcc_lo, s9, v14, vcc_lo
	global_store_b64 v[13:14], v[11:12], off
	s_and_saveexec_b32 s27, s1
	s_cbranch_execz .LBB15_102
; %bb.110:                              ;   in Loop: Header=BB15_103 Depth=2
	v_mov_b32_e32 v27, v22
	s_mov_b32 s28, 0
	s_branch .LBB15_113
.LBB15_111:                             ;   in Loop: Header=BB15_113 Depth=3
	v_add_nc_u32_e32 v15, v25, v27
.LBB15_112:                             ;   in Loop: Header=BB15_113 Depth=3
	s_delay_alu instid0(VALU_DEP_1)
	v_ashrrev_i32_e32 v16, 31, v15
	s_waitcnt vmcnt(0)
	v_fma_f32 v17, -v11, v13, v17
	v_fma_f32 v13, -v12, v13, v18
	v_add_nc_u32_e32 v27, 1, v27
	v_lshlrev_b64 v[15:16], 3, v[15:16]
	s_delay_alu instid0(VALU_DEP_4) | instskip(NEXT) | instid1(VALU_DEP_4)
	v_fmac_f32_e32 v17, v12, v14
	v_fma_f32 v18, -v11, v14, v13
	s_delay_alu instid0(VALU_DEP_4) | instskip(NEXT) | instid1(VALU_DEP_4)
	v_cmp_le_i32_e32 vcc_lo, s14, v27
	v_add_co_u32 v13, s2, s8, v15
	s_delay_alu instid0(VALU_DEP_1)
	v_add_co_ci_u32_e64 v14, s2, s9, v16, s2
	s_or_b32 s28, vcc_lo, s28
	global_store_b64 v[13:14], v[17:18], off
	s_and_not1_b32 exec_lo, exec_lo, s28
	s_cbranch_execz .LBB15_102
.LBB15_113:                             ;   Parent Loop BB15_87 Depth=1
                                        ;     Parent Loop BB15_103 Depth=2
                                        ; =>    This Inner Loop Header: Depth=3
	s_delay_alu instid0(VALU_DEP_1)
	v_add_nc_u32_e32 v28, v27, v19
	s_and_b32 vcc_lo, exec_lo, s7
	s_cbranch_vccz .LBB15_121
; %bb.114:                              ;   in Loop: Header=BB15_113 Depth=3
	s_delay_alu instid0(VALU_DEP_1)
	v_mad_u64_u32 v[13:14], null, v28, s14, v[5:6]
	s_cbranch_execnz .LBB15_116
.LBB15_115:                             ;   in Loop: Header=BB15_113 Depth=3
	v_add_nc_u32_e32 v13, v21, v27
.LBB15_116:                             ;   in Loop: Header=BB15_113 Depth=3
	s_delay_alu instid0(VALU_DEP_1) | instskip(NEXT) | instid1(VALU_DEP_1)
	v_ashrrev_i32_e32 v14, 31, v13
	v_lshlrev_b64 v[13:14], 3, v[13:14]
	s_delay_alu instid0(VALU_DEP_1) | instskip(NEXT) | instid1(VALU_DEP_2)
	v_add_co_u32 v13, vcc_lo, s8, v13
	v_add_co_ci_u32_e32 v14, vcc_lo, s9, v14, vcc_lo
	s_and_b32 vcc_lo, exec_lo, s7
	global_load_b64 v[13:14], v[13:14], off
	s_cbranch_vccz .LBB15_122
; %bb.117:                              ;   in Loop: Header=BB15_113 Depth=3
	v_mad_u64_u32 v[15:16], null, v28, s14, v[10:11]
	s_cbranch_execnz .LBB15_119
.LBB15_118:                             ;   in Loop: Header=BB15_113 Depth=3
	v_add_nc_u32_e32 v15, v25, v27
.LBB15_119:                             ;   in Loop: Header=BB15_113 Depth=3
	s_delay_alu instid0(VALU_DEP_1) | instskip(NEXT) | instid1(VALU_DEP_1)
	v_ashrrev_i32_e32 v16, 31, v15
	v_lshlrev_b64 v[15:16], 3, v[15:16]
	s_delay_alu instid0(VALU_DEP_1) | instskip(NEXT) | instid1(VALU_DEP_2)
	v_add_co_u32 v15, vcc_lo, s8, v15
	v_add_co_ci_u32_e32 v16, vcc_lo, s9, v16, vcc_lo
	s_and_b32 vcc_lo, exec_lo, s7
	global_load_b64 v[17:18], v[15:16], off
	s_cbranch_vccz .LBB15_123
; %bb.120:                              ;   in Loop: Header=BB15_113 Depth=3
	v_mad_u64_u32 v[15:16], null, v28, s14, v[10:11]
	s_cbranch_execnz .LBB15_112
	s_branch .LBB15_111
.LBB15_121:                             ;   in Loop: Header=BB15_113 Depth=3
                                        ; implicit-def: $vgpr13
	s_branch .LBB15_115
.LBB15_122:                             ;   in Loop: Header=BB15_113 Depth=3
                                        ; implicit-def: $vgpr15
	s_branch .LBB15_118
.LBB15_123:                             ;   in Loop: Header=BB15_113 Depth=3
                                        ; implicit-def: $vgpr15
	s_branch .LBB15_111
.LBB15_124:                             ;   in Loop: Header=BB15_103 Depth=2
                                        ; implicit-def: $vgpr12
	s_branch .LBB15_105
.LBB15_125:                             ;   in Loop: Header=BB15_103 Depth=2
                                        ; implicit-def: $vgpr11
	s_branch .LBB15_108
.LBB15_126:                             ;   in Loop: Header=BB15_87 Depth=1
	s_or_b32 exec_lo, exec_lo, s22
	s_delay_alu instid0(SALU_CYCLE_1)
	s_and_b32 s1, s16, exec_lo
	s_and_not1_b32 s17, s17, exec_lo
.LBB15_127:                             ;   in Loop: Header=BB15_87 Depth=1
	s_or_b32 exec_lo, exec_lo, s21
	s_delay_alu instid0(SALU_CYCLE_1) | instskip(SKIP_1) | instid1(SALU_CYCLE_1)
	s_and_not1_b32 s2, s16, exec_lo
	s_and_b32 s1, s1, exec_lo
	s_or_b32 s16, s2, s1
	s_and_saveexec_b32 s1, s17
	s_cbranch_execz .LBB15_86
; %bb.128:                              ;   in Loop: Header=BB15_87 Depth=1
	v_add_nc_u32_e32 v22, 1, v5
	s_or_b32 s16, s16, exec_lo
	s_branch .LBB15_86
.LBB15_129:
	s_or_b32 exec_lo, exec_lo, s6
	s_delay_alu instid0(SALU_CYCLE_1) | instskip(SKIP_1) | instid1(SALU_CYCLE_1)
	s_and_not1_b32 s0, s3, exec_lo
	s_and_b32 s1, s11, exec_lo
	s_or_b32 s3, s0, s1
.LBB15_130:
	s_or_b32 exec_lo, exec_lo, s5
	v_add_nc_u32_e32 v13, 1, v4
	s_mov_b32 s1, exec_lo
	s_delay_alu instid0(VALU_DEP_1)
	v_cmpx_lt_i32_e64 v13, v23
	s_cbranch_execz .LBB15_154
; %bb.131:
	v_mul_lo_u32 v14, v4, s14
	s_mul_i32 s2, s14, s14
	v_cmp_gt_i32_e64 s0, s14, v0
	v_mul_lo_u32 v6, s2, v13
	s_cmp_lg_u32 s20, 0
	s_mov_b32 s5, 0
	s_cselect_b32 s6, -1, 0
	s_add_i32 s7, s14, 1
	v_mad_u64_u32 v[4:5], null, s14, v14, s[14:15]
	s_delay_alu instid0(VALU_DEP_2)
	v_add3_u32 v15, v6, s14, v0
	s_branch .LBB15_133
.LBB15_132:                             ;   in Loop: Header=BB15_133 Depth=1
	v_add_nc_u32_e32 v13, 1, v13
	v_add_nc_u32_e32 v15, s2, v15
	s_delay_alu instid0(VALU_DEP_2) | instskip(SKIP_1) | instid1(SALU_CYCLE_1)
	v_cmp_ge_i32_e32 vcc_lo, v13, v23
	s_or_b32 s5, vcc_lo, s5
	s_and_not1_b32 exec_lo, exec_lo, s5
	s_cbranch_execz .LBB15_154
.LBB15_133:                             ; =>This Loop Header: Depth=1
                                        ;     Child Loop BB15_136 Depth 2
                                        ;       Child Loop BB15_139 Depth 3
                                        ;         Child Loop BB15_143 Depth 4
	s_and_not1_b32 vcc_lo, exec_lo, s4
	s_cbranch_vccnz .LBB15_132
; %bb.134:                              ;   in Loop: Header=BB15_133 Depth=1
	v_mul_lo_u32 v16, v13, s14
	s_delay_alu instid0(VALU_DEP_3)
	v_dual_mov_b32 v17, v15 :: v_dual_mov_b32 v18, v4
	s_mov_b32 s10, 0
	s_branch .LBB15_136
.LBB15_135:                             ;   in Loop: Header=BB15_136 Depth=2
	s_or_b32 exec_lo, exec_lo, s16
	v_add_nc_u32_e32 v18, s7, v18
	v_add_nc_u32_e32 v17, s14, v17
	s_cmp_eq_u32 s11, s14
	s_mov_b32 s10, s11
	s_cbranch_scc1 .LBB15_132
.LBB15_136:                             ;   Parent Loop BB15_133 Depth=1
                                        ; =>  This Loop Header: Depth=2
                                        ;       Child Loop BB15_139 Depth 3
                                        ;         Child Loop BB15_143 Depth 4
	s_add_i32 s11, s10, 1
	s_and_saveexec_b32 s16, s0
	s_cbranch_execz .LBB15_135
; %bb.137:                              ;   in Loop: Header=BB15_136 Depth=2
	v_dual_mov_b32 v22, v0 :: v_dual_add_nc_u32 v5, s10, v14
	v_dual_mov_b32 v21, v17 :: v_dual_add_nc_u32 v6, s10, v16
	s_cmp_lt_i32 s11, s14
	s_delay_alu instid0(VALU_DEP_2) | instskip(SKIP_1) | instid1(VALU_DEP_2)
	v_mul_lo_u32 v19, v5, s14
	s_cselect_b32 s17, -1, 0
	v_mul_lo_u32 v20, v6, s14
	s_mov_b32 s20, 0
	s_branch .LBB15_139
.LBB15_138:                             ;   in Loop: Header=BB15_139 Depth=3
	v_add_nc_u32_e32 v22, 32, v22
	v_add_nc_u32_e32 v21, 32, v21
	s_delay_alu instid0(VALU_DEP_2) | instskip(SKIP_1) | instid1(SALU_CYCLE_1)
	v_cmp_le_i32_e32 vcc_lo, s14, v22
	s_or_b32 s20, vcc_lo, s20
	s_and_not1_b32 exec_lo, exec_lo, s20
	s_cbranch_execz .LBB15_135
.LBB15_139:                             ;   Parent Loop BB15_133 Depth=1
                                        ;     Parent Loop BB15_136 Depth=2
                                        ; =>    This Loop Header: Depth=3
                                        ;         Child Loop BB15_143 Depth 4
	s_and_not1_b32 vcc_lo, exec_lo, s17
	s_cbranch_vccnz .LBB15_138
; %bb.140:                              ;   in Loop: Header=BB15_139 Depth=3
	v_add_nc_u32_e32 v5, v22, v16
	s_delay_alu instid0(VALU_DEP_2) | instskip(SKIP_2) | instid1(VALU_DEP_2)
	v_add_nc_u32_e32 v26, v22, v20
	s_mov_b32 s21, 0
	s_mov_b32 s22, s11
	v_mul_lo_u32 v24, v5, s14
	s_delay_alu instid0(VALU_DEP_1)
	v_add_nc_u32_e32 v25, s10, v24
	s_branch .LBB15_143
.LBB15_141:                             ;   in Loop: Header=BB15_143 Depth=4
	v_mov_b32_e32 v9, v27
.LBB15_142:                             ;   in Loop: Header=BB15_143 Depth=4
	s_delay_alu instid0(VALU_DEP_1)
	v_ashrrev_i32_e32 v10, 31, v9
	s_waitcnt vmcnt(0)
	v_fma_f32 v11, -v5, v7, v11
	v_fma_f32 v7, -v6, v7, v12
	s_add_i32 s22, s22, 1
	s_add_i32 s21, s21, s14
	v_lshlrev_b64 v[9:10], 3, v[9:10]
	v_fmac_f32_e32 v11, v6, v8
	v_fma_f32 v12, -v5, v8, v7
	s_cmp_ge_i32 s22, s14
	s_delay_alu instid0(VALU_DEP_3) | instskip(NEXT) | instid1(VALU_DEP_4)
	v_add_co_u32 v5, vcc_lo, s8, v9
	v_add_co_ci_u32_e32 v6, vcc_lo, s9, v10, vcc_lo
	global_store_b64 v[5:6], v[11:12], off
	s_cbranch_scc1 .LBB15_138
.LBB15_143:                             ;   Parent Loop BB15_133 Depth=1
                                        ;     Parent Loop BB15_136 Depth=2
                                        ;       Parent Loop BB15_139 Depth=3
                                        ; =>      This Inner Loop Header: Depth=4
	s_and_b32 vcc_lo, exec_lo, s6
	s_cbranch_vccz .LBB15_151
; %bb.144:                              ;   in Loop: Header=BB15_143 Depth=4
	v_add_nc_u32_e32 v5, s22, v19
	v_mov_b32_e32 v7, v25
	s_cbranch_execnz .LBB15_146
.LBB15_145:                             ;   in Loop: Header=BB15_143 Depth=4
	v_add_nc_u32_e32 v5, s21, v18
	v_mov_b32_e32 v7, v26
.LBB15_146:                             ;   in Loop: Header=BB15_143 Depth=4
	s_delay_alu instid0(VALU_DEP_2) | instskip(NEXT) | instid1(VALU_DEP_2)
	v_ashrrev_i32_e32 v6, 31, v5
	v_ashrrev_i32_e32 v8, 31, v7
	v_add_nc_u32_e32 v9, s22, v24
	s_delay_alu instid0(VALU_DEP_3) | instskip(NEXT) | instid1(VALU_DEP_3)
	v_lshlrev_b64 v[5:6], 3, v[5:6]
	v_lshlrev_b64 v[7:8], 3, v[7:8]
	s_delay_alu instid0(VALU_DEP_2) | instskip(NEXT) | instid1(VALU_DEP_3)
	v_add_co_u32 v5, vcc_lo, s8, v5
	v_add_co_ci_u32_e32 v6, vcc_lo, s9, v6, vcc_lo
	s_delay_alu instid0(VALU_DEP_3) | instskip(NEXT) | instid1(VALU_DEP_4)
	v_add_co_u32 v7, vcc_lo, s8, v7
	v_add_co_ci_u32_e32 v8, vcc_lo, s9, v8, vcc_lo
	s_and_b32 vcc_lo, exec_lo, s6
	s_clause 0x1
	global_load_b64 v[5:6], v[5:6], off
	global_load_b64 v[7:8], v[7:8], off
	s_cbranch_vccz .LBB15_152
; %bb.147:                              ;   in Loop: Header=BB15_143 Depth=4
	v_add_nc_u32_e32 v10, s22, v24
	v_add_nc_u32_e32 v27, s21, v21
	s_cbranch_execnz .LBB15_149
.LBB15_148:                             ;   in Loop: Header=BB15_143 Depth=4
	v_add_nc_u32_e32 v10, s21, v21
.LBB15_149:                             ;   in Loop: Header=BB15_143 Depth=4
	s_delay_alu instid0(VALU_DEP_1) | instskip(NEXT) | instid1(VALU_DEP_1)
	v_ashrrev_i32_e32 v11, 31, v10
	v_lshlrev_b64 v[10:11], 3, v[10:11]
	s_delay_alu instid0(VALU_DEP_1) | instskip(NEXT) | instid1(VALU_DEP_2)
	v_add_co_u32 v10, vcc_lo, s8, v10
	v_add_co_ci_u32_e32 v11, vcc_lo, s9, v11, vcc_lo
	s_and_b32 vcc_lo, exec_lo, s6
	global_load_b64 v[11:12], v[10:11], off
	s_cbranch_vccz .LBB15_153
; %bb.150:                              ;   in Loop: Header=BB15_143 Depth=4
	s_cbranch_execnz .LBB15_142
	s_branch .LBB15_141
.LBB15_151:                             ;   in Loop: Header=BB15_143 Depth=4
                                        ; implicit-def: $vgpr5
	s_delay_alu instid0(VALU_DEP_1)
	v_mov_b32_e32 v7, v25
	s_branch .LBB15_145
.LBB15_152:                             ;   in Loop: Header=BB15_143 Depth=4
                                        ; implicit-def: $vgpr10
	v_add_nc_u32_e32 v27, s21, v21
	s_branch .LBB15_148
.LBB15_153:                             ;   in Loop: Header=BB15_143 Depth=4
                                        ; implicit-def: $vgpr9
	s_branch .LBB15_141
.LBB15_154:
	s_or_b32 exec_lo, exec_lo, s1
	s_delay_alu instid0(SALU_CYCLE_1)
	s_or_not1_b32 s2, s3, exec_lo
.LBB15_155:
	s_or_b32 exec_lo, exec_lo, s15
	v_cmp_eq_u32_e32 vcc_lo, 0, v0
	s_and_b32 exec_lo, exec_lo, vcc_lo
	s_cbranch_execz .LBB15_161
; %bb.156:
	v_add_co_u32 v2, vcc_lo, s12, v2
	v_add_co_ci_u32_e32 v3, vcc_lo, s13, v3, vcc_lo
	v_mov_b32_e32 v0, 1
	s_waitcnt_vscnt null, 0x0
	global_store_b32 v[2:3], v0, off
	s_and_b32 exec_lo, exec_lo, s2
	s_cbranch_execz .LBB15_161
; %bb.157:
	v_add_nc_u32_e32 v0, s24, v1
	s_mov_b32 s1, exec_lo
	s_brev_b32 s0, -2
.LBB15_158:                             ; =>This Inner Loop Header: Depth=1
	s_ctz_i32_b32 s2, s1
	s_delay_alu instid0(VALU_DEP_1) | instid1(SALU_CYCLE_1)
	v_readlane_b32 s3, v0, s2
	s_lshl_b32 s2, 1, s2
	s_delay_alu instid0(SALU_CYCLE_1) | instskip(NEXT) | instid1(VALU_DEP_1)
	s_and_not1_b32 s1, s1, s2
	s_min_i32 s0, s0, s3
	s_cmp_lg_u32 s1, 0
	s_cbranch_scc1 .LBB15_158
; %bb.159:
	v_mbcnt_lo_u32_b32 v0, exec_lo, 0
	s_mov_b32 s1, exec_lo
	s_delay_alu instid0(VALU_DEP_1)
	v_cmpx_eq_u32_e32 0, v0
	s_xor_b32 s1, exec_lo, s1
	s_cbranch_execz .LBB15_161
; %bb.160:
	v_dual_mov_b32 v0, 0 :: v_dual_mov_b32 v1, s0
	global_atomic_min_i32 v0, v1, s[18:19]
.LBB15_161:
	s_nop 0
	s_sendmsg sendmsg(MSG_DEALLOC_VGPRS)
	s_endpgm
	.section	.rodata,"a",@progbits
	.p2align	6, 0x0
	.amdhsa_kernel _ZN9rocsparseL15bsrilu0_generalILj128ELj32ELb0E21rocsparse_complex_numIfEEEv20rocsparse_direction_iPKiS5_PT2_S5_iPiS5_S8_21rocsparse_index_base_imNS_24const_host_device_scalarIfEENSA_IdEENSA_IS6_EEb
		.amdhsa_group_segment_fixed_size 0
		.amdhsa_private_segment_fixed_size 0
		.amdhsa_kernarg_size 116
		.amdhsa_user_sgpr_count 15
		.amdhsa_user_sgpr_dispatch_ptr 0
		.amdhsa_user_sgpr_queue_ptr 0
		.amdhsa_user_sgpr_kernarg_segment_ptr 1
		.amdhsa_user_sgpr_dispatch_id 0
		.amdhsa_user_sgpr_private_segment_size 0
		.amdhsa_wavefront_size32 1
		.amdhsa_uses_dynamic_stack 0
		.amdhsa_enable_private_segment 0
		.amdhsa_system_sgpr_workgroup_id_x 1
		.amdhsa_system_sgpr_workgroup_id_y 0
		.amdhsa_system_sgpr_workgroup_id_z 0
		.amdhsa_system_sgpr_workgroup_info 0
		.amdhsa_system_vgpr_workitem_id 0
		.amdhsa_next_free_vgpr 39
		.amdhsa_next_free_sgpr 45
		.amdhsa_reserve_vcc 1
		.amdhsa_float_round_mode_32 0
		.amdhsa_float_round_mode_16_64 0
		.amdhsa_float_denorm_mode_32 3
		.amdhsa_float_denorm_mode_16_64 3
		.amdhsa_dx10_clamp 1
		.amdhsa_ieee_mode 1
		.amdhsa_fp16_overflow 0
		.amdhsa_workgroup_processor_mode 1
		.amdhsa_memory_ordered 1
		.amdhsa_forward_progress 0
		.amdhsa_shared_vgpr_count 0
		.amdhsa_exception_fp_ieee_invalid_op 0
		.amdhsa_exception_fp_denorm_src 0
		.amdhsa_exception_fp_ieee_div_zero 0
		.amdhsa_exception_fp_ieee_overflow 0
		.amdhsa_exception_fp_ieee_underflow 0
		.amdhsa_exception_fp_ieee_inexact 0
		.amdhsa_exception_int_div_zero 0
	.end_amdhsa_kernel
	.section	.text._ZN9rocsparseL15bsrilu0_generalILj128ELj32ELb0E21rocsparse_complex_numIfEEEv20rocsparse_direction_iPKiS5_PT2_S5_iPiS5_S8_21rocsparse_index_base_imNS_24const_host_device_scalarIfEENSA_IdEENSA_IS6_EEb,"axG",@progbits,_ZN9rocsparseL15bsrilu0_generalILj128ELj32ELb0E21rocsparse_complex_numIfEEEv20rocsparse_direction_iPKiS5_PT2_S5_iPiS5_S8_21rocsparse_index_base_imNS_24const_host_device_scalarIfEENSA_IdEENSA_IS6_EEb,comdat
.Lfunc_end15:
	.size	_ZN9rocsparseL15bsrilu0_generalILj128ELj32ELb0E21rocsparse_complex_numIfEEEv20rocsparse_direction_iPKiS5_PT2_S5_iPiS5_S8_21rocsparse_index_base_imNS_24const_host_device_scalarIfEENSA_IdEENSA_IS6_EEb, .Lfunc_end15-_ZN9rocsparseL15bsrilu0_generalILj128ELj32ELb0E21rocsparse_complex_numIfEEEv20rocsparse_direction_iPKiS5_PT2_S5_iPiS5_S8_21rocsparse_index_base_imNS_24const_host_device_scalarIfEENSA_IdEENSA_IS6_EEb
                                        ; -- End function
	.section	.AMDGPU.csdata,"",@progbits
; Kernel info:
; codeLenInByte = 5152
; NumSgprs: 47
; NumVgprs: 39
; ScratchSize: 0
; MemoryBound: 0
; FloatMode: 240
; IeeeMode: 1
; LDSByteSize: 0 bytes/workgroup (compile time only)
; SGPRBlocks: 5
; VGPRBlocks: 4
; NumSGPRsForWavesPerEU: 47
; NumVGPRsForWavesPerEU: 39
; Occupancy: 16
; WaveLimiterHint : 1
; COMPUTE_PGM_RSRC2:SCRATCH_EN: 0
; COMPUTE_PGM_RSRC2:USER_SGPR: 15
; COMPUTE_PGM_RSRC2:TRAP_HANDLER: 0
; COMPUTE_PGM_RSRC2:TGID_X_EN: 1
; COMPUTE_PGM_RSRC2:TGID_Y_EN: 0
; COMPUTE_PGM_RSRC2:TGID_Z_EN: 0
; COMPUTE_PGM_RSRC2:TIDIG_COMP_CNT: 0
	.section	.text._ZN9rocsparseL11bsrilu0_2_8ILj64ELj64ELj8E21rocsparse_complex_numIfEEEv20rocsparse_direction_iPKiS5_PT2_S5_iPiS5_S8_21rocsparse_index_base_imNS_24const_host_device_scalarIfEENSA_IdEENSA_IS6_EEb,"axG",@progbits,_ZN9rocsparseL11bsrilu0_2_8ILj64ELj64ELj8E21rocsparse_complex_numIfEEEv20rocsparse_direction_iPKiS5_PT2_S5_iPiS5_S8_21rocsparse_index_base_imNS_24const_host_device_scalarIfEENSA_IdEENSA_IS6_EEb,comdat
	.globl	_ZN9rocsparseL11bsrilu0_2_8ILj64ELj64ELj8E21rocsparse_complex_numIfEEEv20rocsparse_direction_iPKiS5_PT2_S5_iPiS5_S8_21rocsparse_index_base_imNS_24const_host_device_scalarIfEENSA_IdEENSA_IS6_EEb ; -- Begin function _ZN9rocsparseL11bsrilu0_2_8ILj64ELj64ELj8E21rocsparse_complex_numIfEEEv20rocsparse_direction_iPKiS5_PT2_S5_iPiS5_S8_21rocsparse_index_base_imNS_24const_host_device_scalarIfEENSA_IdEENSA_IS6_EEb
	.p2align	8
	.type	_ZN9rocsparseL11bsrilu0_2_8ILj64ELj64ELj8E21rocsparse_complex_numIfEEEv20rocsparse_direction_iPKiS5_PT2_S5_iPiS5_S8_21rocsparse_index_base_imNS_24const_host_device_scalarIfEENSA_IdEENSA_IS6_EEb,@function
_ZN9rocsparseL11bsrilu0_2_8ILj64ELj64ELj8E21rocsparse_complex_numIfEEEv20rocsparse_direction_iPKiS5_PT2_S5_iPiS5_S8_21rocsparse_index_base_imNS_24const_host_device_scalarIfEENSA_IdEENSA_IS6_EEb: ; @_ZN9rocsparseL11bsrilu0_2_8ILj64ELj64ELj8E21rocsparse_complex_numIfEEEv20rocsparse_direction_iPKiS5_PT2_S5_iPiS5_S8_21rocsparse_index_base_imNS_24const_host_device_scalarIfEENSA_IdEENSA_IS6_EEb
; %bb.0:
	s_mov_b32 s22, s15
	s_clause 0x2
	s_load_b32 s2, s[0:1], 0x70
	s_load_b64 s[20:21], s[0:1], 0x48
	s_load_b256 s[12:19], s[0:1], 0x50
	s_waitcnt lgkmcnt(0)
	s_bitcmp1_b32 s2, 0
	s_cselect_b32 s4, -1, 0
	s_cmp_lg_u32 s21, 0
	s_cselect_b32 s5, -1, 0
	s_cmp_eq_u32 s21, 0
	s_cselect_b32 s7, -1, 0
	s_delay_alu instid0(SALU_CYCLE_1) | instskip(SKIP_3) | instid1(SALU_CYCLE_1)
	s_and_b32 s2, s7, exec_lo
	s_cselect_b32 s2, 0, s16
	s_cselect_b32 s3, 0, s17
	s_or_b32 s6, s7, s4
	s_and_b32 vcc_lo, exec_lo, s6
	s_xor_b32 s6, s6, -1
	s_cbranch_vccnz .LBB16_2
; %bb.1:
	s_load_b32 s2, s[14:15], 0x0
	s_waitcnt lgkmcnt(0)
	v_mov_b32_e32 v11, s2
	s_mov_b64 s[2:3], s[16:17]
	s_delay_alu instid0(SALU_CYCLE_1)
	v_dual_mov_b32 v1, s2 :: v_dual_mov_b32 v2, s3
	s_and_not1_b32 vcc_lo, exec_lo, s6
	s_cbranch_vccz .LBB16_3
	s_branch .LBB16_4
.LBB16_2:
	v_cndmask_b32_e64 v11, s14, 0, s7
	v_dual_mov_b32 v1, s2 :: v_dual_mov_b32 v2, s3
	s_and_not1_b32 vcc_lo, exec_lo, s6
	s_cbranch_vccnz .LBB16_4
.LBB16_3:
	v_dual_mov_b32 v1, s16 :: v_dual_mov_b32 v2, s17
	flat_load_b64 v[1:2], v[1:2]
.LBB16_4:
	v_cndmask_b32_e64 v10, 0, 1, s5
	s_mov_b32 s36, 0
	s_and_not1_b32 vcc_lo, exec_lo, s5
	s_mov_b32 s33, s36
	s_cbranch_vccnz .LBB16_10
; %bb.5:
	s_xor_b32 s2, s4, -1
	s_mov_b32 s33, s18
	v_cndmask_b32_e64 v3, 0, 1, s2
	s_and_not1_b32 vcc_lo, exec_lo, s2
	s_cbranch_vccnz .LBB16_7
; %bb.6:
	s_load_b32 s33, s[18:19], 0x0
.LBB16_7:
	s_delay_alu instid0(VALU_DEP_1)
	v_cmp_ne_u32_e32 vcc_lo, 1, v3
	s_cbranch_vccnz .LBB16_9
; %bb.8:
	s_load_b32 s19, s[18:19], 0x4
.LBB16_9:
	s_waitcnt lgkmcnt(0)
	s_mov_b32 s36, s19
.LBB16_10:
	s_clause 0x1
	s_load_b128 s[16:19], s[0:1], 0x30
	s_load_b64 s[14:15], s[0:1], 0x40
	s_mov_b32 s23, 0
	s_delay_alu instid0(SALU_CYCLE_1)
	s_lshl_b64 s[2:3], s[22:23], 2
	s_waitcnt lgkmcnt(0)
	s_add_u32 s2, s18, s2
	s_addc_u32 s3, s19, s3
	s_load_b32 s18, s[2:3], 0x0
	s_load_b256 s[4:11], s[0:1], 0x8
	s_waitcnt lgkmcnt(0)
	s_ashr_i32 s19, s18, 31
	s_delay_alu instid0(SALU_CYCLE_1) | instskip(NEXT) | instid1(SALU_CYCLE_1)
	s_lshl_b64 s[24:25], s[18:19], 2
	s_add_u32 s2, s10, s24
	s_addc_u32 s3, s11, s25
	s_load_b32 s26, s[2:3], 0x0
	s_waitcnt lgkmcnt(0)
	s_cmp_eq_u32 s26, -1
	s_cbranch_scc1 .LBB16_90
; %bb.11:
	s_add_u32 s2, s4, s24
	s_addc_u32 s3, s5, s25
	s_load_b64 s[2:3], s[2:3], 0x0
	s_clause 0x1
	s_load_b64 s[28:29], s[0:1], 0x0
	s_load_b32 s19, s[0:1], 0x28
	s_waitcnt lgkmcnt(0)
	s_sub_i32 s30, s2, s20
	s_sub_i32 s21, s3, s20
	s_cmp_ge_i32 s30, s26
	s_cbranch_scc1 .LBB16_62
; %bb.12:
	v_bfe_u32 v13, v0, 10, 10
	v_and_b32_e32 v12, 0x3ff, v0
	s_cmp_eq_u32 s28, 0
	v_mov_b32_e32 v24, 0
	s_cselect_b32 vcc_lo, -1, 0
	v_mul_u32_u24_e32 v4, 9, v13
	v_lshlrev_b32_e32 v5, 3, v12
	v_max_u32_e32 v3, v12, v13
	s_cmp_gt_i32 s19, 0
	v_mul_u32_u24_e32 v14, 0x48, v13
	v_lshlrev_b32_e32 v18, 3, v4
	v_cndmask_b32_e32 v4, v12, v13, vcc_lo
	s_cselect_b32 s22, -1, 0
	s_add_u32 s34, s0, 0x78
	s_addc_u32 s35, s1, 0
	s_add_i32 s27, s29, 1
	v_mad_u32_u24 v15, 0x48, v13, v5
	v_cmp_gt_u32_e64 s3, s19, v3
	s_cmp_lg_u32 s19, 1
	v_dual_cndmask_b32 v3, v13, v12 :: v_dual_add_nc_u32 v6, v18, v5
	s_cselect_b32 s29, -1, 0
	s_and_b32 s37, s19, 0x7ffffffe
	s_bitcmp1_b32 s19, 0
	v_cmp_eq_u32_e64 s2, 0, v13
	v_add_nc_u32_e32 v16, s30, v12
	v_add_nc_u32_e32 v17, 0x240, v15
	s_cselect_b32 s38, -1, 0
	s_add_u32 s39, s4, 4
	v_add_nc_u32_e32 v19, 0x2d0, v6
	v_add_nc_u32_e32 v20, 0x288, v6
	;; [unrolled: 1-line block ×5, first 2 shown]
	s_addc_u32 s40, s5, 0
	s_add_u32 s41, s6, 0x100
	s_addc_u32 s42, s7, 0
	s_branch .LBB16_15
.LBB16_13:                              ;   in Loop: Header=BB16_15 Depth=1
	s_mov_b32 s23, -1
.LBB16_14:                              ;   in Loop: Header=BB16_15 Depth=1
	s_add_i32 s30, s30, 1
	s_delay_alu instid0(SALU_CYCLE_1) | instskip(SKIP_1) | instid1(SALU_CYCLE_1)
	s_cmp_lt_i32 s30, s26
	s_cselect_b32 s1, -1, 0
	s_and_b32 s0, s0, s1
	s_delay_alu instid0(SALU_CYCLE_1)
	s_and_b32 vcc_lo, exec_lo, s0
	s_cbranch_vccz .LBB16_62
.LBB16_15:                              ; =>This Loop Header: Depth=1
                                        ;     Child Loop BB16_19 Depth 2
                                        ;     Child Loop BB16_26 Depth 2
	;; [unrolled: 1-line block ×3, first 2 shown]
                                        ;       Child Loop BB16_51 Depth 3
                                        ;       Child Loop BB16_59 Depth 3
	s_ashr_i32 s31, s30, 31
	v_mov_b32_e32 v5, 0
	s_lshl_b64 s[0:1], s[30:31], 2
	s_delay_alu instid0(SALU_CYCLE_1)
	s_add_u32 s0, s6, s0
	s_addc_u32 s1, s7, s1
	global_load_b32 v6, v24, s[0:1]
	s_waitcnt vmcnt(0)
	v_readfirstlane_b32 s0, v6
	v_mov_b32_e32 v6, 0
	s_and_saveexec_b32 s1, s3
	s_cbranch_execz .LBB16_17
; %bb.16:                               ;   in Loop: Header=BB16_15 Depth=1
	v_mad_u64_u32 v[5:6], null, s30, s19, v[3:4]
	s_delay_alu instid0(VALU_DEP_1) | instskip(SKIP_1) | instid1(VALU_DEP_1)
	v_mad_u64_u32 v[6:7], null, v5, s19, v[4:5]
	v_mov_b32_e32 v7, v24
	v_lshlrev_b64 v[5:6], 3, v[6:7]
	s_delay_alu instid0(VALU_DEP_1) | instskip(NEXT) | instid1(VALU_DEP_2)
	v_add_co_u32 v5, vcc_lo, s8, v5
	v_add_co_ci_u32_e32 v6, vcc_lo, s9, v6, vcc_lo
	global_load_b64 v[5:6], v[5:6], off
.LBB16_17:                              ;   in Loop: Header=BB16_15 Depth=1
	s_or_b32 exec_lo, exec_lo, s1
	s_sub_i32 s0, s0, s20
	s_waitcnt vmcnt(0)
	ds_store_b64 v17, v[5:6]
	s_ashr_i32 s1, s0, 31
	s_delay_alu instid0(SALU_CYCLE_1) | instskip(NEXT) | instid1(SALU_CYCLE_1)
	s_lshl_b64 s[4:5], s[0:1], 2
	s_add_u32 s0, s10, s4
	s_addc_u32 s1, s11, s5
	global_load_b32 v7, v24, s[0:1]
	s_waitcnt vmcnt(0)
	v_cmp_eq_u32_e32 vcc_lo, -1, v7
	v_readfirstlane_b32 s1, v7
	v_cmp_ne_u32_e64 s0, -1, v7
	s_cbranch_vccnz .LBB16_13
; %bb.18:                               ;   in Loop: Header=BB16_15 Depth=1
	s_add_u32 s44, s39, s4
	s_addc_u32 s45, s40, s5
	s_add_u32 s4, s16, s4
	global_load_b32 v5, v24, s[44:45]
	s_addc_u32 s5, s17, s5
	s_waitcnt vmcnt(0)
	v_readfirstlane_b32 s31, v5
.LBB16_19:                              ;   Parent Loop BB16_15 Depth=1
                                        ; =>  This Inner Loop Header: Depth=2
	global_load_b32 v5, v24, s[4:5] glc
	s_waitcnt vmcnt(0)
	v_cmp_eq_u32_e32 vcc_lo, 0, v5
	s_cbranch_vccnz .LBB16_19
; %bb.20:                               ;   in Loop: Header=BB16_15 Depth=1
	v_mov_b32_e32 v5, 0
	s_waitcnt lgkmcnt(0)
	buffer_gl1_inv
	buffer_gl0_inv
	v_mov_b32_e32 v6, v5
	s_and_saveexec_b32 s4, s3
	s_cbranch_execz .LBB16_22
; %bb.21:                               ;   in Loop: Header=BB16_15 Depth=1
	v_mad_u64_u32 v[5:6], null, s1, s19, v[3:4]
	s_delay_alu instid0(VALU_DEP_1) | instskip(SKIP_1) | instid1(VALU_DEP_1)
	v_mad_u64_u32 v[6:7], null, v5, s19, v[4:5]
	v_mov_b32_e32 v7, v24
	v_lshlrev_b64 v[5:6], 3, v[6:7]
	s_delay_alu instid0(VALU_DEP_1) | instskip(NEXT) | instid1(VALU_DEP_2)
	v_add_co_u32 v5, vcc_lo, s8, v5
	v_add_co_ci_u32_e32 v6, vcc_lo, s9, v6, vcc_lo
	global_load_b64 v[5:6], v[5:6], off
.LBB16_22:                              ;   in Loop: Header=BB16_15 Depth=1
	s_or_b32 exec_lo, exec_lo, s4
	s_delay_alu instid0(SALU_CYCLE_1)
	s_and_not1_b32 vcc_lo, exec_lo, s22
	s_waitcnt vmcnt(0)
	ds_store_b64 v15, v[5:6]
	s_waitcnt lgkmcnt(0)
	buffer_gl0_inv
	s_cbranch_vccnz .LBB16_40
; %bb.23:                               ;   in Loop: Header=BB16_15 Depth=1
	s_and_not1_b32 vcc_lo, exec_lo, s29
	s_mov_b32 s43, 0
	s_cbranch_vccnz .LBB16_34
; %bb.24:                               ;   in Loop: Header=BB16_15 Depth=1
	v_dual_mov_b32 v7, v23 :: v_dual_mov_b32 v8, v22
	v_dual_mov_b32 v9, v21 :: v_dual_mov_b32 v26, v19
	v_mov_b32_e32 v25, v20
	s_mov_b32 s4, 0
	s_mov_b32 s5, 0
	s_branch .LBB16_26
.LBB16_25:                              ;   in Loop: Header=BB16_26 Depth=2
	s_or_b32 exec_lo, exec_lo, s43
	v_add_nc_u32_e32 v26, 0x90, v26
	v_add_nc_u32_e32 v25, 0x90, v25
	;; [unrolled: 1-line block ×5, first 2 shown]
	s_add_i32 s5, s5, 2
	s_addk_i32 s4, 0xa0
	s_cmp_eq_u32 s37, s5
	s_mov_b32 s43, s37
	s_waitcnt lgkmcnt(0)
	buffer_gl0_inv
	s_cbranch_scc1 .LBB16_34
.LBB16_26:                              ;   Parent Loop BB16_15 Depth=1
                                        ; =>  This Inner Loop Header: Depth=2
	v_mov_b32_e32 v5, s4
	ds_load_b64 v[5:6], v5
	ds_load_b64 v[27:28], v9
	s_waitcnt lgkmcnt(0)
	buffer_gl0_inv
	v_mul_f32_e32 v29, v6, v6
	s_delay_alu instid0(VALU_DEP_1) | instskip(NEXT) | instid1(VALU_DEP_1)
	v_fmac_f32_e32 v29, v5, v5
	v_div_scale_f32 v30, null, v29, v29, 1.0
	v_div_scale_f32 v33, vcc_lo, 1.0, v29, 1.0
	s_delay_alu instid0(VALU_DEP_2) | instskip(SKIP_2) | instid1(VALU_DEP_1)
	v_rcp_f32_e32 v31, v30
	s_waitcnt_depctr 0xfff
	v_fma_f32 v32, -v30, v31, 1.0
	v_fmac_f32_e32 v31, v32, v31
	s_delay_alu instid0(VALU_DEP_1) | instskip(NEXT) | instid1(VALU_DEP_1)
	v_mul_f32_e32 v32, v33, v31
	v_fma_f32 v34, -v30, v32, v33
	s_delay_alu instid0(VALU_DEP_1) | instskip(NEXT) | instid1(VALU_DEP_1)
	v_fmac_f32_e32 v32, v34, v31
	v_fma_f32 v30, -v30, v32, v33
	v_mul_f32_e32 v33, v6, v28
	v_mul_f32_e64 v6, v6, -v27
	s_delay_alu instid0(VALU_DEP_3) | instskip(NEXT) | instid1(VALU_DEP_3)
	v_div_fmas_f32 v30, v30, v31, v32
	v_fmac_f32_e32 v33, v27, v5
	s_delay_alu instid0(VALU_DEP_3) | instskip(NEXT) | instid1(VALU_DEP_3)
	v_fmac_f32_e32 v6, v28, v5
	v_div_fixup_f32 v27, v30, v29, 1.0
	s_delay_alu instid0(VALU_DEP_1) | instskip(NEXT) | instid1(VALU_DEP_4)
	v_mul_f32_e32 v6, v27, v6
	v_mul_f32_e32 v5, v27, v33
	s_and_saveexec_b32 s43, s2
	s_cbranch_execz .LBB16_28
; %bb.27:                               ;   in Loop: Header=BB16_26 Depth=2
	ds_store_b64 v9, v[5:6]
.LBB16_28:                              ;   in Loop: Header=BB16_26 Depth=2
	s_or_b32 exec_lo, exec_lo, s43
	v_add_nc_u32_e32 v27, s5, v13
	s_mov_b32 s43, exec_lo
	s_delay_alu instid0(VALU_DEP_1) | instskip(NEXT) | instid1(VALU_DEP_1)
	v_add_nc_u32_e32 v28, 1, v27
	v_cmpx_gt_i32_e64 s19, v28
	s_cbranch_execz .LBB16_30
; %bb.29:                               ;   in Loop: Header=BB16_26 Depth=2
	ds_load_b64 v[28:29], v7
	ds_load_b64 v[30:31], v25
	s_waitcnt lgkmcnt(0)
	v_fma_f32 v30, -v5, v28, v30
	v_fma_f32 v28, -v6, v28, v31
	s_delay_alu instid0(VALU_DEP_2) | instskip(NEXT) | instid1(VALU_DEP_2)
	v_fmac_f32_e32 v30, v6, v29
	v_fma_f32 v31, -v5, v29, v28
	ds_store_b64 v25, v[30:31]
.LBB16_30:                              ;   in Loop: Header=BB16_26 Depth=2
	s_or_b32 exec_lo, exec_lo, s43
	v_mov_b32_e32 v5, s4
	s_waitcnt lgkmcnt(0)
	buffer_gl0_inv
	ds_load_b64 v[5:6], v5 offset:80
	ds_load_b64 v[28:29], v9 offset:72
	s_waitcnt lgkmcnt(0)
	buffer_gl0_inv
	v_mul_f32_e32 v30, v6, v6
	s_delay_alu instid0(VALU_DEP_1) | instskip(NEXT) | instid1(VALU_DEP_1)
	v_fmac_f32_e32 v30, v5, v5
	v_div_scale_f32 v31, null, v30, v30, 1.0
	v_div_scale_f32 v34, vcc_lo, 1.0, v30, 1.0
	s_delay_alu instid0(VALU_DEP_2) | instskip(SKIP_2) | instid1(VALU_DEP_1)
	v_rcp_f32_e32 v32, v31
	s_waitcnt_depctr 0xfff
	v_fma_f32 v33, -v31, v32, 1.0
	v_fmac_f32_e32 v32, v33, v32
	s_delay_alu instid0(VALU_DEP_1) | instskip(NEXT) | instid1(VALU_DEP_1)
	v_mul_f32_e32 v33, v34, v32
	v_fma_f32 v35, -v31, v33, v34
	s_delay_alu instid0(VALU_DEP_1) | instskip(NEXT) | instid1(VALU_DEP_1)
	v_fmac_f32_e32 v33, v35, v32
	v_fma_f32 v31, -v31, v33, v34
	v_mul_f32_e32 v34, v6, v29
	v_mul_f32_e64 v6, v6, -v28
	s_delay_alu instid0(VALU_DEP_3) | instskip(NEXT) | instid1(VALU_DEP_3)
	v_div_fmas_f32 v31, v31, v32, v33
	v_fmac_f32_e32 v34, v28, v5
	s_delay_alu instid0(VALU_DEP_3) | instskip(NEXT) | instid1(VALU_DEP_3)
	v_fmac_f32_e32 v6, v29, v5
	v_div_fixup_f32 v28, v31, v30, 1.0
	s_delay_alu instid0(VALU_DEP_1) | instskip(NEXT) | instid1(VALU_DEP_3)
	v_mul_f32_e32 v5, v28, v34
	v_mul_f32_e32 v6, v28, v6
	s_and_saveexec_b32 s43, s2
	s_cbranch_execz .LBB16_32
; %bb.31:                               ;   in Loop: Header=BB16_26 Depth=2
	ds_store_b64 v9, v[5:6] offset:72
.LBB16_32:                              ;   in Loop: Header=BB16_26 Depth=2
	s_or_b32 exec_lo, exec_lo, s43
	v_add_nc_u32_e32 v27, 2, v27
	s_mov_b32 s43, exec_lo
	s_delay_alu instid0(VALU_DEP_1)
	v_cmpx_gt_i32_e64 s19, v27
	s_cbranch_execz .LBB16_25
; %bb.33:                               ;   in Loop: Header=BB16_26 Depth=2
	ds_load_b64 v[27:28], v8
	ds_load_b64 v[29:30], v26
	s_waitcnt lgkmcnt(0)
	v_fma_f32 v29, -v5, v27, v29
	v_fma_f32 v27, -v6, v27, v30
	s_delay_alu instid0(VALU_DEP_2) | instskip(NEXT) | instid1(VALU_DEP_2)
	v_fmac_f32_e32 v29, v6, v28
	v_fma_f32 v30, -v5, v28, v27
	ds_store_b64 v26, v[29:30]
	s_branch .LBB16_25
.LBB16_34:                              ;   in Loop: Header=BB16_15 Depth=1
	s_and_not1_b32 vcc_lo, exec_lo, s38
	s_cbranch_vccnz .LBB16_40
; %bb.35:                               ;   in Loop: Header=BB16_15 Depth=1
	s_lshl_b32 s4, s43, 3
	s_mul_i32 s5, s43, 0x48
	s_delay_alu instid0(SALU_CYCLE_1)
	s_add_i32 s4, s5, s4
	v_lshl_add_u32 v9, v12, 3, s5
	v_mov_b32_e32 v5, s4
	ds_load_b64 v[7:8], v9 offset:576
	ds_load_b64 v[5:6], v5
	s_waitcnt lgkmcnt(0)
	buffer_gl0_inv
	v_mul_f32_e32 v25, v6, v6
	s_delay_alu instid0(VALU_DEP_1) | instskip(NEXT) | instid1(VALU_DEP_1)
	v_fmac_f32_e32 v25, v5, v5
	v_div_scale_f32 v26, null, v25, v25, 1.0
	v_div_scale_f32 v29, vcc_lo, 1.0, v25, 1.0
	s_delay_alu instid0(VALU_DEP_2) | instskip(SKIP_2) | instid1(VALU_DEP_1)
	v_rcp_f32_e32 v27, v26
	s_waitcnt_depctr 0xfff
	v_fma_f32 v28, -v26, v27, 1.0
	v_fmac_f32_e32 v27, v28, v27
	s_delay_alu instid0(VALU_DEP_1) | instskip(NEXT) | instid1(VALU_DEP_1)
	v_mul_f32_e32 v28, v29, v27
	v_fma_f32 v30, -v26, v28, v29
	s_delay_alu instid0(VALU_DEP_1) | instskip(NEXT) | instid1(VALU_DEP_1)
	v_fmac_f32_e32 v28, v30, v27
	v_fma_f32 v26, -v26, v28, v29
	v_mul_f32_e32 v29, v6, v8
	v_mul_f32_e64 v6, v6, -v7
	s_delay_alu instid0(VALU_DEP_3) | instskip(NEXT) | instid1(VALU_DEP_3)
	v_div_fmas_f32 v26, v26, v27, v28
	v_fmac_f32_e32 v29, v7, v5
	s_delay_alu instid0(VALU_DEP_3) | instskip(SKIP_1) | instid1(VALU_DEP_4)
	v_fmac_f32_e32 v6, v8, v5
	v_add_nc_u32_e32 v7, 0x240, v9
	v_div_fixup_f32 v25, v26, v25, 1.0
	s_delay_alu instid0(VALU_DEP_1)
	v_mul_f32_e32 v6, v25, v6
	v_mul_f32_e32 v5, v25, v29
	s_and_saveexec_b32 s5, s2
	s_cbranch_execz .LBB16_37
; %bb.36:                               ;   in Loop: Header=BB16_15 Depth=1
	ds_store_b64 v7, v[5:6]
.LBB16_37:                              ;   in Loop: Header=BB16_15 Depth=1
	s_or_b32 exec_lo, exec_lo, s5
	v_add3_u32 v8, s43, 1, v13
	s_mov_b32 s5, exec_lo
	s_delay_alu instid0(VALU_DEP_1)
	v_cmpx_gt_i32_e64 s19, v8
	s_cbranch_execz .LBB16_39
; %bb.38:                               ;   in Loop: Header=BB16_15 Depth=1
	v_add_nc_u32_e32 v8, s4, v18
	v_add_nc_u32_e32 v9, v7, v18
	ds_load_b64 v[7:8], v8 offset:72
	ds_load_b64 v[25:26], v9 offset:72
	s_waitcnt lgkmcnt(0)
	v_fma_f32 v25, -v5, v7, v25
	v_fma_f32 v7, -v6, v7, v26
	s_delay_alu instid0(VALU_DEP_2) | instskip(NEXT) | instid1(VALU_DEP_2)
	v_fmac_f32_e32 v25, v6, v8
	v_fma_f32 v26, -v5, v8, v7
	ds_store_b64 v9, v[25:26] offset:72
.LBB16_39:                              ;   in Loop: Header=BB16_15 Depth=1
	s_or_b32 exec_lo, exec_lo, s5
	s_waitcnt lgkmcnt(0)
	buffer_gl0_inv
.LBB16_40:                              ;   in Loop: Header=BB16_15 Depth=1
	s_and_saveexec_b32 s4, s3
	s_cbranch_execz .LBB16_42
; %bb.41:                               ;   in Loop: Header=BB16_15 Depth=1
	v_mad_u64_u32 v[5:6], null, s30, s19, v[3:4]
	ds_load_b64 v[8:9], v17
	v_mad_u64_u32 v[6:7], null, v5, s19, v[4:5]
	v_mov_b32_e32 v7, v24
	s_delay_alu instid0(VALU_DEP_1) | instskip(NEXT) | instid1(VALU_DEP_1)
	v_lshlrev_b64 v[5:6], 3, v[6:7]
	v_add_co_u32 v5, vcc_lo, s8, v5
	s_delay_alu instid0(VALU_DEP_2)
	v_add_co_ci_u32_e32 v6, vcc_lo, s9, v6, vcc_lo
	s_waitcnt lgkmcnt(0)
	global_store_b64 v[5:6], v[8:9], off
.LBB16_42:                              ;   in Loop: Header=BB16_15 Depth=1
	s_or_b32 exec_lo, exec_lo, s4
	s_sub_i32 s31, s31, s20
	s_add_i32 s4, s1, 1
	s_delay_alu instid0(SALU_CYCLE_1)
	s_cmp_ge_i32 s4, s31
	s_cbranch_scc1 .LBB16_14
; %bb.43:                               ;   in Loop: Header=BB16_15 Depth=1
	s_load_b32 s1, s[34:35], 0xc
	s_waitcnt lgkmcnt(0)
	s_and_b32 s1, s1, 0xffff
	s_delay_alu instid0(SALU_CYCLE_1) | instskip(NEXT) | instid1(VALU_DEP_1)
	v_mad_u32_u24 v5, v13, s1, v16
	v_ashrrev_i32_e32 v6, 31, v5
	v_cmp_gt_i32_e64 s1, s21, v5
	s_delay_alu instid0(VALU_DEP_2) | instskip(NEXT) | instid1(VALU_DEP_1)
	v_lshlrev_b64 v[6:7], 2, v[5:6]
	v_add_co_u32 v6, vcc_lo, s6, v6
	s_delay_alu instid0(VALU_DEP_2)
	v_add_co_ci_u32_e32 v7, vcc_lo, s7, v7, vcc_lo
	s_branch .LBB16_46
.LBB16_44:                              ;   in Loop: Header=BB16_46 Depth=2
	s_or_b32 exec_lo, exec_lo, s5
.LBB16_45:                              ;   in Loop: Header=BB16_46 Depth=2
	s_add_i32 s4, s4, 1
	s_waitcnt_vscnt null, 0x0
	buffer_gl0_inv
	s_cmp_lt_i32 s4, s31
	s_cbranch_scc0 .LBB16_14
.LBB16_46:                              ;   Parent Loop BB16_15 Depth=1
                                        ; =>  This Loop Header: Depth=2
                                        ;       Child Loop BB16_51 Depth 3
                                        ;       Child Loop BB16_59 Depth 3
	s_ashr_i32 s5, s4, 31
	v_mov_b32_e32 v9, s27
	s_lshl_b64 s[44:45], s[4:5], 2
	s_delay_alu instid0(SALU_CYCLE_1)
	s_add_u32 s44, s6, s44
	s_addc_u32 s45, s7, s45
	global_load_b32 v8, v24, s[44:45]
	s_and_saveexec_b32 s5, s1
	s_cbranch_execz .LBB16_48
; %bb.47:                               ;   in Loop: Header=BB16_46 Depth=2
	global_load_b32 v9, v[6:7], off
	s_waitcnt vmcnt(0)
	v_subrev_nc_u32_e32 v9, s20, v9
.LBB16_48:                              ;   in Loop: Header=BB16_46 Depth=2
	s_or_b32 exec_lo, exec_lo, s5
	s_waitcnt vmcnt(0)
	v_subrev_nc_u32_e32 v25, s20, v8
	v_mov_b32_e32 v26, v5
	s_mov_b32 s5, exec_lo
	s_delay_alu instid0(VALU_DEP_2)
	v_cmpx_lt_i32_e64 v9, v25
	s_cbranch_execz .LBB16_54
; %bb.49:                               ;   in Loop: Header=BB16_46 Depth=2
	v_mov_b32_e32 v8, v5
	s_mov_b32 s43, 0
	s_branch .LBB16_51
	.p2align	6
.LBB16_50:                              ;   in Loop: Header=BB16_51 Depth=3
	s_or_b32 exec_lo, exec_lo, s44
	s_delay_alu instid0(VALU_DEP_1) | instskip(SKIP_2) | instid1(SALU_CYCLE_1)
	v_cmp_ge_i32_e32 vcc_lo, v9, v25
	v_mov_b32_e32 v8, v26
	s_or_b32 s43, vcc_lo, s43
	s_and_not1_b32 exec_lo, exec_lo, s43
	s_cbranch_execz .LBB16_53
.LBB16_51:                              ;   Parent Loop BB16_15 Depth=1
                                        ;     Parent Loop BB16_46 Depth=2
                                        ; =>    This Inner Loop Header: Depth=3
	s_delay_alu instid0(VALU_DEP_1) | instskip(SKIP_1) | instid1(VALU_DEP_1)
	v_dual_mov_b32 v9, s27 :: v_dual_add_nc_u32 v26, 64, v8
	s_mov_b32 s44, exec_lo
	v_cmpx_gt_i32_e64 s21, v26
	s_cbranch_execz .LBB16_50
; %bb.52:                               ;   in Loop: Header=BB16_51 Depth=3
	v_ashrrev_i32_e32 v9, 31, v8
	s_delay_alu instid0(VALU_DEP_1) | instskip(NEXT) | instid1(VALU_DEP_1)
	v_lshlrev_b64 v[8:9], 2, v[8:9]
	v_add_co_u32 v8, vcc_lo, s41, v8
	s_delay_alu instid0(VALU_DEP_2)
	v_add_co_ci_u32_e32 v9, vcc_lo, s42, v9, vcc_lo
	global_load_b32 v8, v[8:9], off
	s_waitcnt vmcnt(0)
	v_subrev_nc_u32_e32 v9, s20, v8
	s_branch .LBB16_50
.LBB16_53:                              ;   in Loop: Header=BB16_46 Depth=2
	s_or_b32 exec_lo, exec_lo, s43
.LBB16_54:                              ;   in Loop: Header=BB16_46 Depth=2
	s_delay_alu instid0(SALU_CYCLE_1)
	s_or_b32 exec_lo, exec_lo, s5
	v_cmp_eq_u32_e32 vcc_lo, v9, v25
	s_cbranch_vccz .LBB16_45
; %bb.55:                               ;   in Loop: Header=BB16_46 Depth=2
	s_ctz_i32_b32 s5, vcc_lo
	v_mov_b32_e32 v9, 0
	s_lshl_b32 s5, s5, 2
	s_delay_alu instid0(SALU_CYCLE_1)
	v_dual_mov_b32 v25, 0 :: v_dual_mov_b32 v8, s5
	ds_bpermute_b32 v26, v8, v26
	v_mov_b32_e32 v8, 0
	s_and_saveexec_b32 s5, s3
	s_cbranch_execz .LBB16_57
; %bb.56:                               ;   in Loop: Header=BB16_46 Depth=2
	v_mad_u64_u32 v[8:9], null, s4, s19, v[3:4]
	s_delay_alu instid0(VALU_DEP_1) | instskip(SKIP_1) | instid1(VALU_DEP_1)
	v_mad_u64_u32 v[27:28], null, v8, s19, v[4:5]
	v_mov_b32_e32 v28, v24
	v_lshlrev_b64 v[8:9], 3, v[27:28]
	s_delay_alu instid0(VALU_DEP_1) | instskip(NEXT) | instid1(VALU_DEP_2)
	v_add_co_u32 v8, vcc_lo, s8, v8
	v_add_co_ci_u32_e32 v9, vcc_lo, s9, v9, vcc_lo
	global_load_b64 v[8:9], v[8:9], off
.LBB16_57:                              ;   in Loop: Header=BB16_46 Depth=2
	s_or_b32 exec_lo, exec_lo, s5
	v_mov_b32_e32 v27, 0
	s_and_not1_b32 vcc_lo, exec_lo, s22
	s_waitcnt vmcnt(0)
	ds_store_b64 v15, v[8:9]
	s_waitcnt lgkmcnt(0)
	s_waitcnt_vscnt null, 0x0
	buffer_gl0_inv
	s_cbranch_vccnz .LBB16_60
; %bb.58:                               ;   in Loop: Header=BB16_46 Depth=2
	v_dual_mov_b32 v25, 0 :: v_dual_mov_b32 v8, v21
	v_mov_b32_e32 v9, v14
	v_mov_b32_e32 v27, 0
	s_mov_b32 s5, s19
.LBB16_59:                              ;   Parent Loop BB16_15 Depth=1
                                        ;     Parent Loop BB16_46 Depth=2
                                        ; =>    This Inner Loop Header: Depth=3
	ds_load_b64 v[28:29], v8
	ds_load_b64 v[30:31], v9
	v_add_nc_u32_e32 v9, 8, v9
	s_add_i32 s5, s5, -1
	v_add_nc_u32_e32 v8, 0x48, v8
	s_cmp_eq_u32 s5, 0
	s_waitcnt lgkmcnt(0)
	v_fmac_f32_e32 v25, v28, v30
	v_fmac_f32_e32 v27, v29, v30
	s_delay_alu instid0(VALU_DEP_2) | instskip(NEXT) | instid1(VALU_DEP_2)
	v_fma_f32 v25, -v29, v31, v25
	v_fmac_f32_e32 v27, v28, v31
	s_cbranch_scc0 .LBB16_59
.LBB16_60:                              ;   in Loop: Header=BB16_46 Depth=2
	s_and_saveexec_b32 s5, s3
	s_cbranch_execz .LBB16_44
; %bb.61:                               ;   in Loop: Header=BB16_46 Depth=2
	v_mad_u64_u32 v[8:9], null, v26, s19, v[3:4]
	s_delay_alu instid0(VALU_DEP_1) | instskip(SKIP_1) | instid1(VALU_DEP_1)
	v_mad_u64_u32 v[28:29], null, v8, s19, v[4:5]
	v_mov_b32_e32 v29, v24
	v_lshlrev_b64 v[8:9], 3, v[28:29]
	s_delay_alu instid0(VALU_DEP_1) | instskip(NEXT) | instid1(VALU_DEP_2)
	v_add_co_u32 v8, vcc_lo, s8, v8
	v_add_co_ci_u32_e32 v9, vcc_lo, s9, v9, vcc_lo
	global_load_b64 v[28:29], v[8:9], off
	s_waitcnt vmcnt(0)
	v_dual_sub_f32 v25, v28, v25 :: v_dual_sub_f32 v26, v29, v27
	global_store_b64 v[8:9], v[25:26], off
	s_branch .LBB16_44
.LBB16_62:
	s_ashr_i32 s27, s26, 31
	v_mov_b32_e32 v4, 0
	s_lshl_b64 s[0:1], s[26:27], 2
	s_delay_alu instid0(SALU_CYCLE_1) | instskip(SKIP_4) | instid1(VALU_DEP_1)
	s_add_u32 s0, s6, s0
	s_addc_u32 s1, s7, s1
	global_load_b32 v3, v4, s[0:1]
	s_waitcnt vmcnt(0)
	v_subrev_nc_u32_e32 v3, s20, v3
	v_cmp_ne_u32_e32 vcc_lo, s18, v3
	s_cbranch_vccnz .LBB16_94
; %bb.63:
	v_and_b32_e32 v7, 0x3ff, v0
	v_bfe_u32 v8, v0, 10, 10
	s_delay_alu instid0(VALU_DEP_1) | instskip(NEXT) | instid1(VALU_DEP_1)
	v_max_u32_e32 v3, v7, v8
	v_cmp_gt_u32_e64 s0, s19, v3
	v_mov_b32_e32 v3, 0
	s_delay_alu instid0(VALU_DEP_2)
	s_and_saveexec_b32 s1, s0
	s_cbranch_execz .LBB16_65
; %bb.64:
	s_cmp_eq_u32 s28, 0
	s_cselect_b32 vcc_lo, -1, 0
	v_cndmask_b32_e32 v3, v8, v7, vcc_lo
	s_delay_alu instid0(VALU_DEP_1) | instskip(SKIP_1) | instid1(VALU_DEP_1)
	v_mad_u64_u32 v[4:5], null, s26, s19, v[3:4]
	v_cndmask_b32_e32 v3, v7, v8, vcc_lo
	v_mad_u64_u32 v[5:6], null, v4, s19, v[3:4]
	v_mov_b32_e32 v6, 0
	s_delay_alu instid0(VALU_DEP_1) | instskip(NEXT) | instid1(VALU_DEP_1)
	v_lshlrev_b64 v[3:4], 3, v[5:6]
	v_add_co_u32 v3, vcc_lo, s8, v3
	s_delay_alu instid0(VALU_DEP_2)
	v_add_co_ci_u32_e32 v4, vcc_lo, s9, v4, vcc_lo
	global_load_b64 v[3:4], v[3:4], off
.LBB16_65:
	s_or_b32 exec_lo, exec_lo, s1
	v_lshlrev_b32_e32 v5, 3, v7
	s_cmp_lt_i32 s19, 1
	s_delay_alu instid0(VALU_DEP_1)
	v_mad_u32_u24 v9, 0x48, v8, v5
	s_waitcnt vmcnt(0)
	ds_store_b64 v9, v[3:4]
	s_waitcnt lgkmcnt(0)
	s_waitcnt_vscnt null, 0x0
	buffer_gl0_inv
	s_cbranch_scc1 .LBB16_91
; %bb.66:
	v_cvt_f64_f32_e32 v[3:4], v11
	v_or_b32_e32 v5, v7, v8
	v_mul_u32_u24_e32 v6, 9, v8
	s_cmp_eq_u64 s[12:13], 8
	v_cmp_eq_u32_e64 s1, 0, v8
	s_cselect_b32 vcc_lo, -1, 0
	v_cmp_eq_u32_e64 s2, 0, v5
	v_lshlrev_b32_e32 v11, 3, v6
	s_mov_b32 s4, 0
	v_dual_cndmask_b32 v2, v4, v2 :: v_dual_cndmask_b32 v1, v3, v1
.LBB16_67:                              ; =>This Inner Loop Header: Depth=1
	s_lshl_b32 s3, s4, 3
	s_mul_i32 s5, s4, 0x48
	v_cmp_ne_u32_e32 vcc_lo, 1, v10
	s_add_i32 s5, s5, s3
	s_waitcnt lgkmcnt(0)
	v_mov_b32_e32 v3, s5
	ds_load_b64 v[3:4], v3
	s_cbranch_vccnz .LBB16_76
; %bb.68:                               ;   in Loop: Header=BB16_67 Depth=1
	s_waitcnt lgkmcnt(0)
	v_cmp_gt_f32_e32 vcc_lo, 0, v3
	v_cndmask_b32_e64 v5, v3, -v3, vcc_lo
	v_cmp_gt_f32_e32 vcc_lo, 0, v4
	v_cndmask_b32_e64 v6, v4, -v4, vcc_lo
	s_delay_alu instid0(VALU_DEP_1)
	v_cmp_ngt_f32_e32 vcc_lo, v5, v6
	s_cbranch_vccz .LBB16_89
; %bb.69:                               ;   in Loop: Header=BB16_67 Depth=1
	v_cmp_eq_f32_e32 vcc_lo, 0, v4
	v_mov_b32_e32 v12, 0
	s_mov_b32 s6, 0
	s_cbranch_vccnz .LBB16_71
; %bb.70:                               ;   in Loop: Header=BB16_67 Depth=1
	v_div_scale_f32 v12, null, v6, v6, v5
	v_div_scale_f32 v15, vcc_lo, v5, v6, v5
	s_delay_alu instid0(VALU_DEP_2) | instskip(SKIP_2) | instid1(VALU_DEP_1)
	v_rcp_f32_e32 v13, v12
	s_waitcnt_depctr 0xfff
	v_fma_f32 v14, -v12, v13, 1.0
	v_fmac_f32_e32 v13, v14, v13
	s_delay_alu instid0(VALU_DEP_1) | instskip(NEXT) | instid1(VALU_DEP_1)
	v_mul_f32_e32 v14, v15, v13
	v_fma_f32 v16, -v12, v14, v15
	s_delay_alu instid0(VALU_DEP_1) | instskip(NEXT) | instid1(VALU_DEP_1)
	v_fmac_f32_e32 v14, v16, v13
	v_fma_f32 v12, -v12, v14, v15
	s_delay_alu instid0(VALU_DEP_1) | instskip(NEXT) | instid1(VALU_DEP_1)
	v_div_fmas_f32 v12, v12, v13, v14
	v_div_fixup_f32 v12, v12, v6, v5
	s_delay_alu instid0(VALU_DEP_1) | instskip(NEXT) | instid1(VALU_DEP_1)
	v_fma_f32 v12, v12, v12, 1.0
	v_mul_f32_e32 v13, 0x4f800000, v12
	v_cmp_gt_f32_e32 vcc_lo, 0xf800000, v12
	s_delay_alu instid0(VALU_DEP_2) | instskip(NEXT) | instid1(VALU_DEP_1)
	v_cndmask_b32_e32 v12, v12, v13, vcc_lo
	v_sqrt_f32_e32 v13, v12
	s_waitcnt_depctr 0xfff
	v_add_nc_u32_e32 v14, -1, v13
	v_add_nc_u32_e32 v15, 1, v13
	s_delay_alu instid0(VALU_DEP_2) | instskip(NEXT) | instid1(VALU_DEP_2)
	v_fma_f32 v16, -v14, v13, v12
	v_fma_f32 v17, -v15, v13, v12
	s_delay_alu instid0(VALU_DEP_2) | instskip(NEXT) | instid1(VALU_DEP_1)
	v_cmp_ge_f32_e64 s3, 0, v16
	v_cndmask_b32_e64 v13, v13, v14, s3
	s_delay_alu instid0(VALU_DEP_3) | instskip(NEXT) | instid1(VALU_DEP_1)
	v_cmp_lt_f32_e64 s3, 0, v17
	v_cndmask_b32_e64 v13, v13, v15, s3
	s_delay_alu instid0(VALU_DEP_1) | instskip(NEXT) | instid1(VALU_DEP_1)
	v_mul_f32_e32 v14, 0x37800000, v13
	v_cndmask_b32_e32 v13, v13, v14, vcc_lo
	v_cmp_class_f32_e64 vcc_lo, v12, 0x260
	s_delay_alu instid0(VALU_DEP_2) | instskip(NEXT) | instid1(VALU_DEP_1)
	v_cndmask_b32_e32 v12, v13, v12, vcc_lo
	v_mul_f32_e32 v12, v6, v12
.LBB16_71:                              ;   in Loop: Header=BB16_67 Depth=1
	s_and_not1_b32 vcc_lo, exec_lo, s6
	s_cbranch_vccnz .LBB16_73
.LBB16_72:                              ;   in Loop: Header=BB16_67 Depth=1
	v_div_scale_f32 v12, null, v5, v5, v6
	v_div_scale_f32 v15, vcc_lo, v6, v5, v6
	s_delay_alu instid0(VALU_DEP_2) | instskip(SKIP_2) | instid1(VALU_DEP_1)
	v_rcp_f32_e32 v13, v12
	s_waitcnt_depctr 0xfff
	v_fma_f32 v14, -v12, v13, 1.0
	v_fmac_f32_e32 v13, v14, v13
	s_delay_alu instid0(VALU_DEP_1) | instskip(NEXT) | instid1(VALU_DEP_1)
	v_mul_f32_e32 v14, v15, v13
	v_fma_f32 v16, -v12, v14, v15
	s_delay_alu instid0(VALU_DEP_1) | instskip(NEXT) | instid1(VALU_DEP_1)
	v_fmac_f32_e32 v14, v16, v13
	v_fma_f32 v12, -v12, v14, v15
	s_delay_alu instid0(VALU_DEP_1) | instskip(NEXT) | instid1(VALU_DEP_1)
	v_div_fmas_f32 v12, v12, v13, v14
	v_div_fixup_f32 v6, v12, v5, v6
	s_delay_alu instid0(VALU_DEP_1) | instskip(NEXT) | instid1(VALU_DEP_1)
	v_fma_f32 v6, v6, v6, 1.0
	v_mul_f32_e32 v12, 0x4f800000, v6
	v_cmp_gt_f32_e32 vcc_lo, 0xf800000, v6
	s_delay_alu instid0(VALU_DEP_2) | instskip(NEXT) | instid1(VALU_DEP_1)
	v_cndmask_b32_e32 v6, v6, v12, vcc_lo
	v_sqrt_f32_e32 v12, v6
	s_waitcnt_depctr 0xfff
	v_add_nc_u32_e32 v13, -1, v12
	v_add_nc_u32_e32 v14, 1, v12
	s_delay_alu instid0(VALU_DEP_2) | instskip(NEXT) | instid1(VALU_DEP_2)
	v_fma_f32 v15, -v13, v12, v6
	v_fma_f32 v16, -v14, v12, v6
	s_delay_alu instid0(VALU_DEP_2) | instskip(NEXT) | instid1(VALU_DEP_1)
	v_cmp_ge_f32_e64 s3, 0, v15
	v_cndmask_b32_e64 v12, v12, v13, s3
	s_delay_alu instid0(VALU_DEP_3) | instskip(NEXT) | instid1(VALU_DEP_1)
	v_cmp_lt_f32_e64 s3, 0, v16
	v_cndmask_b32_e64 v12, v12, v14, s3
	s_delay_alu instid0(VALU_DEP_1) | instskip(NEXT) | instid1(VALU_DEP_1)
	v_mul_f32_e32 v13, 0x37800000, v12
	v_cndmask_b32_e32 v12, v12, v13, vcc_lo
	v_cmp_class_f32_e64 vcc_lo, v6, 0x260
	s_delay_alu instid0(VALU_DEP_2) | instskip(NEXT) | instid1(VALU_DEP_1)
	v_cndmask_b32_e32 v6, v12, v6, vcc_lo
	v_mul_f32_e32 v12, v5, v6
.LBB16_73:                              ;   in Loop: Header=BB16_67 Depth=1
	s_delay_alu instid0(VALU_DEP_1)
	v_cvt_f64_f32_e32 v[5:6], v12
	buffer_gl0_inv
	v_cmp_ge_f64_e32 vcc_lo, v[1:2], v[5:6]
	v_cndmask_b32_e64 v5, v3, s33, vcc_lo
	v_cndmask_b32_e64 v6, v4, s36, vcc_lo
	s_and_saveexec_b32 s3, s2
	s_cbranch_execz .LBB16_75
; %bb.74:                               ;   in Loop: Header=BB16_67 Depth=1
	v_mov_b32_e32 v12, s5
	ds_store_b64 v12, v[5:6]
.LBB16_75:                              ;   in Loop: Header=BB16_67 Depth=1
	s_or_b32 exec_lo, exec_lo, s3
	s_mov_b32 s3, -1
	s_mov_b32 s6, 0
	s_branch .LBB16_78
.LBB16_76:                              ;   in Loop: Header=BB16_67 Depth=1
	s_mov_b32 s3, 0
                                        ; implicit-def: $vgpr5
	s_mov_b32 s6, 0
	s_cbranch_execz .LBB16_78
; %bb.77:                               ;   in Loop: Header=BB16_67 Depth=1
	s_waitcnt lgkmcnt(0)
	v_cmp_neq_f32_e32 vcc_lo, 0, v3
	v_cmp_neq_f32_e64 s3, 0, v4
	v_dual_mov_b32 v5, v3 :: v_dual_mov_b32 v6, v4
	s_mov_b32 s6, -1
	s_delay_alu instid0(VALU_DEP_2)
	s_or_b32 s3, vcc_lo, s3
.LBB16_78:                              ;   in Loop: Header=BB16_67 Depth=1
	s_delay_alu instid0(SALU_CYCLE_1)
	s_and_not1_b32 vcc_lo, exec_lo, s3
                                        ; implicit-def: $sgpr3
	s_cbranch_vccz .LBB16_81
; %bb.79:                               ;   in Loop: Header=BB16_67 Depth=1
	s_and_not1_b32 vcc_lo, exec_lo, s6
	s_cbranch_vccz .LBB16_87
.LBB16_80:                              ;   in Loop: Header=BB16_67 Depth=1
	s_cmp_eq_u32 s3, s19
	s_cbranch_scc0 .LBB16_88
	s_branch .LBB16_91
.LBB16_81:                              ;   in Loop: Header=BB16_67 Depth=1
	s_add_i32 s3, s4, 1
	s_mov_b32 s6, exec_lo
	s_waitcnt lgkmcnt(0)
	v_add_nc_u32_e32 v3, s3, v7
	s_delay_alu instid0(VALU_DEP_1)
	v_cmpx_gt_i32_e64 s19, v3
	s_cbranch_execz .LBB16_86
; %bb.82:                               ;   in Loop: Header=BB16_67 Depth=1
	v_mul_f32_e32 v13, v6, v6
	v_lshl_add_u32 v12, v7, 3, s5
	s_delay_alu instid0(VALU_DEP_2) | instskip(NEXT) | instid1(VALU_DEP_1)
	v_fmac_f32_e32 v13, v5, v5
	v_div_scale_f32 v14, null, v13, v13, 1.0
	v_div_scale_f32 v16, vcc_lo, 1.0, v13, 1.0
	s_delay_alu instid0(VALU_DEP_2) | instskip(SKIP_2) | instid1(VALU_DEP_1)
	v_rcp_f32_e32 v15, v14
	s_waitcnt_depctr 0xfff
	v_fma_f32 v3, -v14, v15, 1.0
	v_fmac_f32_e32 v15, v3, v15
	ds_load_b64 v[3:4], v12 offset:8
	s_waitcnt lgkmcnt(0)
	buffer_gl0_inv
	v_mul_f32_e32 v17, v16, v15
	s_delay_alu instid0(VALU_DEP_1) | instskip(NEXT) | instid1(VALU_DEP_1)
	v_fma_f32 v18, -v14, v17, v16
	v_fmac_f32_e32 v17, v18, v15
	s_delay_alu instid0(VALU_DEP_1) | instskip(SKIP_2) | instid1(VALU_DEP_2)
	v_fma_f32 v14, -v14, v17, v16
	v_mul_f32_e32 v16, v6, v4
	v_mul_f32_e64 v6, v6, -v3
	v_fmac_f32_e32 v16, v3, v5
	s_delay_alu instid0(VALU_DEP_2) | instskip(SKIP_1) | instid1(VALU_DEP_1)
	v_fmac_f32_e32 v6, v4, v5
	v_div_fmas_f32 v14, v14, v15, v17
	v_div_fixup_f32 v13, v14, v13, 1.0
	s_delay_alu instid0(VALU_DEP_1)
	v_mul_f32_e32 v4, v13, v6
	v_mul_f32_e32 v3, v13, v16
	s_and_saveexec_b32 s7, s1
	s_cbranch_execz .LBB16_84
; %bb.83:                               ;   in Loop: Header=BB16_67 Depth=1
	ds_store_b64 v12, v[3:4] offset:8
.LBB16_84:                              ;   in Loop: Header=BB16_67 Depth=1
	s_or_b32 exec_lo, exec_lo, s7
	v_add_nc_u32_e32 v5, s3, v8
	s_delay_alu instid0(VALU_DEP_1)
	v_cmp_gt_i32_e32 vcc_lo, s19, v5
	s_and_b32 exec_lo, exec_lo, vcc_lo
	s_cbranch_execz .LBB16_86
; %bb.85:                               ;   in Loop: Header=BB16_67 Depth=1
	v_add_nc_u32_e32 v5, s5, v11
	v_add_nc_u32_e32 v14, v12, v11
	ds_load_b64 v[5:6], v5 offset:72
	ds_load_b64 v[12:13], v14 offset:80
	s_waitcnt lgkmcnt(0)
	v_fma_f32 v12, -v3, v5, v12
	v_fma_f32 v5, -v4, v5, v13
	s_delay_alu instid0(VALU_DEP_2) | instskip(NEXT) | instid1(VALU_DEP_2)
	v_fmac_f32_e32 v12, v4, v6
	v_fma_f32 v13, -v3, v6, v5
	ds_store_b64 v14, v[12:13] offset:80
.LBB16_86:                              ;   in Loop: Header=BB16_67 Depth=1
	s_or_b32 exec_lo, exec_lo, s6
	s_cbranch_execnz .LBB16_80
.LBB16_87:                              ;   in Loop: Header=BB16_67 Depth=1
	s_add_i32 s3, s4, 1
	s_mov_b32 s23, -1
	s_cmp_eq_u32 s3, s19
	s_cbranch_scc1 .LBB16_91
.LBB16_88:                              ;   in Loop: Header=BB16_67 Depth=1
	s_mov_b32 s4, s3
	s_branch .LBB16_67
.LBB16_89:                              ;   in Loop: Header=BB16_67 Depth=1
                                        ; implicit-def: $vgpr12
	s_branch .LBB16_72
.LBB16_90:
	s_mov_b32 s23, -1
	s_branch .LBB16_118
.LBB16_91:
	s_waitcnt lgkmcnt(0)
	buffer_gl0_inv
	s_and_saveexec_b32 s1, s0
	s_cbranch_execz .LBB16_93
; %bb.92:
	s_cmp_eq_u32 s28, 0
	s_cselect_b32 vcc_lo, -1, 0
	v_cndmask_b32_e32 v1, v8, v7, vcc_lo
	s_delay_alu instid0(VALU_DEP_1) | instskip(SKIP_1) | instid1(VALU_DEP_1)
	v_mad_u64_u32 v[2:3], null, s26, s19, v[1:2]
	v_cndmask_b32_e32 v1, v7, v8, vcc_lo
	v_mad_u64_u32 v[3:4], null, v2, s19, v[1:2]
	v_mov_b32_e32 v4, 0
	ds_load_b64 v[1:2], v9
	v_lshlrev_b64 v[3:4], 3, v[3:4]
	s_delay_alu instid0(VALU_DEP_1) | instskip(NEXT) | instid1(VALU_DEP_2)
	v_add_co_u32 v3, vcc_lo, s8, v3
	v_add_co_ci_u32_e32 v4, vcc_lo, s9, v4, vcc_lo
	s_waitcnt lgkmcnt(0)
	global_store_b64 v[3:4], v[1:2], off
.LBB16_93:
	s_or_b32 exec_lo, exec_lo, s1
.LBB16_94:
	s_add_i32 s1, s26, 1
	s_delay_alu instid0(SALU_CYCLE_1)
	s_cmp_ge_i32 s1, s21
	s_cbranch_scc1 .LBB16_118
; %bb.95:
	v_and_b32_e32 v3, 0x3ff, v0
	v_bfe_u32 v6, v0, 10, 10
	s_cmp_eq_u32 s28, 0
	s_movk_i32 s6, 0x240
	s_cselect_b32 vcc_lo, -1, 0
	v_lshlrev_b32_e32 v1, 3, v3
	v_mul_u32_u24_e32 v2, 0x48, v6
	v_max_u32_e32 v4, v3, v6
	s_cmp_gt_i32 s19, 0
	v_mad_u32_u24 v9, 0x48, v3, s6
	v_lshlrev_b32_e32 v8, 3, v6
	v_add3_u32 v7, v2, v1, 0x240
	v_cndmask_b32_e32 v2, v3, v6, vcc_lo
	v_cmp_gt_u32_e64 s0, s19, v4
	v_cndmask_b32_e32 v1, v6, v3, vcc_lo
	v_mul_u32_u24_e32 v4, 0x48, v3
	s_cselect_b32 s2, -1, 0
	s_add_i32 s4, s19, -1
	s_and_b32 s3, s19, 3
	s_cmp_gt_u32 s4, 2
	v_add_nc_u32_e32 v3, 8, v8
	s_cselect_b32 s4, -1, 0
	s_and_b32 s5, s19, 0x7ffffffc
	v_add3_u32 v10, v4, v8, 0x248
	v_mov_b32_e32 v11, 0
	s_cmp_lg_u32 s3, 0
	s_cselect_b32 s6, -1, 0
	s_branch .LBB16_97
.LBB16_96:                              ;   in Loop: Header=BB16_97 Depth=1
	s_or_b32 exec_lo, exec_lo, s7
	s_add_i32 s1, s1, 1
	s_delay_alu instid0(SALU_CYCLE_1)
	s_cmp_lt_i32 s1, s21
	s_cbranch_scc0 .LBB16_118
.LBB16_97:                              ; =>This Loop Header: Depth=1
                                        ;     Child Loop BB16_103 Depth 2
                                        ;     Child Loop BB16_114 Depth 2
	v_dual_mov_b32 v5, 0 :: v_dual_mov_b32 v4, 0
	s_waitcnt lgkmcnt(0)
	s_waitcnt_vscnt null, 0x0
	buffer_gl0_inv
	s_and_saveexec_b32 s7, s0
	s_cbranch_execz .LBB16_99
; %bb.98:                               ;   in Loop: Header=BB16_97 Depth=1
	v_mad_u64_u32 v[4:5], null, s1, s19, v[1:2]
	s_delay_alu instid0(VALU_DEP_1) | instskip(SKIP_1) | instid1(VALU_DEP_1)
	v_mad_u64_u32 v[12:13], null, v4, s19, v[2:3]
	v_mov_b32_e32 v13, v11
	v_lshlrev_b64 v[4:5], 3, v[12:13]
	s_delay_alu instid0(VALU_DEP_1) | instskip(NEXT) | instid1(VALU_DEP_2)
	v_add_co_u32 v4, vcc_lo, s8, v4
	v_add_co_ci_u32_e32 v5, vcc_lo, s9, v5, vcc_lo
	global_load_b64 v[4:5], v[4:5], off
.LBB16_99:                              ;   in Loop: Header=BB16_97 Depth=1
	s_or_b32 exec_lo, exec_lo, s7
	s_delay_alu instid0(SALU_CYCLE_1)
	s_and_not1_b32 vcc_lo, exec_lo, s2
	s_waitcnt vmcnt(0)
	ds_store_b64 v7, v[4:5]
	s_waitcnt lgkmcnt(0)
	buffer_gl0_inv
	s_cbranch_vccnz .LBB16_116
; %bb.100:                              ;   in Loop: Header=BB16_97 Depth=1
	s_and_not1_b32 vcc_lo, exec_lo, s4
	s_mov_b32 s11, 0
	s_cbranch_vccnz .LBB16_111
; %bb.101:                              ;   in Loop: Header=BB16_97 Depth=1
	v_mov_b32_e32 v4, v9
	s_mov_b32 s7, 0
	s_mov_b32 s10, 8
	s_branch .LBB16_103
.LBB16_102:                             ;   in Loop: Header=BB16_103 Depth=2
	s_or_b32 exec_lo, exec_lo, s11
	v_add_nc_u32_e32 v4, 32, v4
	s_add_i32 s7, s7, 4
	s_addk_i32 s10, 0x140
	s_cmp_eq_u32 s5, s7
	s_mov_b32 s11, s5
	s_cbranch_scc1 .LBB16_111
.LBB16_103:                             ;   Parent Loop BB16_97 Depth=1
                                        ; =>  This Inner Loop Header: Depth=2
	v_add_nc_u32_e32 v13, s7, v6
	v_add_nc_u32_e32 v12, s10, v8
	s_delay_alu instid0(VALU_DEP_2) | instskip(NEXT) | instid1(VALU_DEP_1)
	v_add_nc_u32_e32 v5, 1, v13
	v_cmp_gt_i32_e32 vcc_lo, s19, v5
	v_add_nc_u32_e32 v5, v4, v8
	s_and_saveexec_b32 s11, vcc_lo
	s_cbranch_execz .LBB16_105
; %bb.104:                              ;   in Loop: Header=BB16_103 Depth=2
	ds_load_b64 v[14:15], v12
	ds_load_b64 v[16:17], v4
	ds_load_b64 v[18:19], v5 offset:8
	s_waitcnt lgkmcnt(0)
	v_fma_f32 v18, -v14, v16, v18
	v_fma_f32 v16, -v15, v16, v19
	s_delay_alu instid0(VALU_DEP_2) | instskip(NEXT) | instid1(VALU_DEP_2)
	v_fmac_f32_e32 v18, v15, v17
	v_fma_f32 v19, -v14, v17, v16
	ds_store_b64 v5, v[18:19] offset:8
.LBB16_105:                             ;   in Loop: Header=BB16_103 Depth=2
	s_or_b32 exec_lo, exec_lo, s11
	v_add_nc_u32_e32 v14, 2, v13
	s_mov_b32 s11, exec_lo
	s_delay_alu instid0(VALU_DEP_1)
	v_cmpx_gt_i32_e64 s19, v14
	s_cbranch_execz .LBB16_107
; %bb.106:                              ;   in Loop: Header=BB16_103 Depth=2
	ds_load_b64 v[14:15], v12 offset:80
	ds_load_b64 v[16:17], v4 offset:8
	;; [unrolled: 1-line block ×3, first 2 shown]
	s_waitcnt lgkmcnt(0)
	v_fma_f32 v18, -v14, v16, v18
	v_fma_f32 v16, -v15, v16, v19
	s_delay_alu instid0(VALU_DEP_2) | instskip(NEXT) | instid1(VALU_DEP_2)
	v_fmac_f32_e32 v18, v15, v17
	v_fma_f32 v19, -v14, v17, v16
	ds_store_b64 v5, v[18:19] offset:16
.LBB16_107:                             ;   in Loop: Header=BB16_103 Depth=2
	s_or_b32 exec_lo, exec_lo, s11
	v_add_nc_u32_e32 v14, 3, v13
	s_mov_b32 s11, exec_lo
	s_delay_alu instid0(VALU_DEP_1)
	v_cmpx_gt_i32_e64 s19, v14
	s_cbranch_execz .LBB16_109
; %bb.108:                              ;   in Loop: Header=BB16_103 Depth=2
	ds_load_b64 v[14:15], v12 offset:160
	ds_load_b64 v[16:17], v4 offset:16
	;; [unrolled: 1-line block ×3, first 2 shown]
	s_waitcnt lgkmcnt(0)
	v_fma_f32 v18, -v14, v16, v18
	v_fma_f32 v16, -v15, v16, v19
	s_delay_alu instid0(VALU_DEP_2) | instskip(NEXT) | instid1(VALU_DEP_2)
	v_fmac_f32_e32 v18, v15, v17
	v_fma_f32 v19, -v14, v17, v16
	ds_store_b64 v5, v[18:19] offset:24
.LBB16_109:                             ;   in Loop: Header=BB16_103 Depth=2
	s_or_b32 exec_lo, exec_lo, s11
	v_add_nc_u32_e32 v13, 4, v13
	s_mov_b32 s11, exec_lo
	s_delay_alu instid0(VALU_DEP_1)
	v_cmpx_gt_i32_e64 s19, v13
	s_cbranch_execz .LBB16_102
; %bb.110:                              ;   in Loop: Header=BB16_103 Depth=2
	ds_load_b64 v[12:13], v12 offset:240
	ds_load_b64 v[14:15], v4 offset:24
	;; [unrolled: 1-line block ×3, first 2 shown]
	s_waitcnt lgkmcnt(0)
	v_fma_f32 v16, -v12, v14, v16
	v_fma_f32 v14, -v13, v14, v17
	s_delay_alu instid0(VALU_DEP_2) | instskip(NEXT) | instid1(VALU_DEP_2)
	v_fmac_f32_e32 v16, v13, v15
	v_fma_f32 v17, -v12, v15, v14
	ds_store_b64 v5, v[16:17] offset:32
	s_branch .LBB16_102
.LBB16_111:                             ;   in Loop: Header=BB16_97 Depth=1
	s_and_not1_b32 vcc_lo, exec_lo, s6
	s_cbranch_vccnz .LBB16_116
; %bb.112:                              ;   in Loop: Header=BB16_97 Depth=1
	v_mad_u64_u32 v[4:5], null, 0x50, s11, v[3:4]
	s_lshl_b32 s7, s11, 3
	v_add_nc_u32_e32 v5, s11, v6
	v_add_nc_u32_e32 v12, s7, v10
	;; [unrolled: 1-line block ×3, first 2 shown]
	s_mov_b32 s7, s3
	s_set_inst_prefetch_distance 0x1
	s_branch .LBB16_114
	.p2align	6
.LBB16_113:                             ;   in Loop: Header=BB16_114 Depth=2
	s_or_b32 exec_lo, exec_lo, s10
	v_add_nc_u32_e32 v4, 0x50, v4
	v_add_nc_u32_e32 v12, 8, v12
	;; [unrolled: 1-line block ×3, first 2 shown]
	s_add_i32 s7, s7, -1
	s_delay_alu instid0(SALU_CYCLE_1)
	s_cmp_lg_u32 s7, 0
	s_cbranch_scc0 .LBB16_116
.LBB16_114:                             ;   Parent Loop BB16_97 Depth=1
                                        ; =>  This Inner Loop Header: Depth=2
	v_add_nc_u32_e32 v5, 1, v5
	s_mov_b32 s10, exec_lo
	s_delay_alu instid0(VALU_DEP_1)
	v_cmpx_gt_i32_e64 s19, v5
	s_cbranch_execz .LBB16_113
; %bb.115:                              ;   in Loop: Header=BB16_114 Depth=2
	ds_load_b64 v[14:15], v4
	ds_load_b64 v[16:17], v13
	;; [unrolled: 1-line block ×3, first 2 shown]
	s_waitcnt lgkmcnt(0)
	v_fma_f32 v18, -v14, v16, v18
	v_fma_f32 v16, -v15, v16, v19
	s_delay_alu instid0(VALU_DEP_2) | instskip(NEXT) | instid1(VALU_DEP_2)
	v_fmac_f32_e32 v18, v15, v17
	v_fma_f32 v19, -v14, v17, v16
	ds_store_b64 v12, v[18:19]
	s_branch .LBB16_113
.LBB16_116:                             ;   in Loop: Header=BB16_97 Depth=1
	s_set_inst_prefetch_distance 0x2
	s_waitcnt lgkmcnt(0)
	buffer_gl0_inv
	s_and_saveexec_b32 s7, s0
	s_cbranch_execz .LBB16_96
; %bb.117:                              ;   in Loop: Header=BB16_97 Depth=1
	v_mad_u64_u32 v[4:5], null, s1, s19, v[1:2]
	s_delay_alu instid0(VALU_DEP_1) | instskip(SKIP_2) | instid1(VALU_DEP_1)
	v_mad_u64_u32 v[12:13], null, v4, s19, v[2:3]
	ds_load_b64 v[4:5], v7
	v_mov_b32_e32 v13, v11
	v_lshlrev_b64 v[12:13], 3, v[12:13]
	s_delay_alu instid0(VALU_DEP_1) | instskip(NEXT) | instid1(VALU_DEP_2)
	v_add_co_u32 v12, vcc_lo, s8, v12
	v_add_co_ci_u32_e32 v13, vcc_lo, s9, v13, vcc_lo
	s_waitcnt lgkmcnt(0)
	global_store_b64 v[12:13], v[4:5], off
	s_branch .LBB16_96
.LBB16_118:
	s_waitcnt vmcnt(0)
	v_and_b32_e32 v1, 0x3ff, v0
	v_bfe_u32 v0, v0, 10, 10
	s_mov_b32 s0, exec_lo
	s_delay_alu instid0(VALU_DEP_1) | instskip(NEXT) | instid1(VALU_DEP_1)
	v_or_b32_e32 v0, v1, v0
	v_cmpx_eq_u32_e32 0, v0
	s_cbranch_execz .LBB16_122
; %bb.119:
	v_dual_mov_b32 v0, 0 :: v_dual_mov_b32 v1, 1
	s_add_u32 s0, s16, s24
	s_addc_u32 s1, s17, s25
	s_and_not1_b32 vcc_lo, exec_lo, s23
	s_waitcnt_vscnt null, 0x0
	global_store_b32 v0, v1, s[0:1]
	s_cbranch_vccnz .LBB16_122
; %bb.120:
	v_mbcnt_lo_u32_b32 v0, exec_lo, 0
	s_delay_alu instid0(VALU_DEP_1)
	v_cmp_eq_u32_e32 vcc_lo, 0, v0
	s_and_b32 exec_lo, exec_lo, vcc_lo
	s_cbranch_execz .LBB16_122
; %bb.121:
	s_add_i32 s0, s18, s20
	s_delay_alu instid0(SALU_CYCLE_1)
	v_dual_mov_b32 v0, 0 :: v_dual_mov_b32 v1, s0
	global_atomic_min_i32 v0, v1, s[14:15]
.LBB16_122:
	s_nop 0
	s_sendmsg sendmsg(MSG_DEALLOC_VGPRS)
	s_endpgm
	.section	.rodata,"a",@progbits
	.p2align	6, 0x0
	.amdhsa_kernel _ZN9rocsparseL11bsrilu0_2_8ILj64ELj64ELj8E21rocsparse_complex_numIfEEEv20rocsparse_direction_iPKiS5_PT2_S5_iPiS5_S8_21rocsparse_index_base_imNS_24const_host_device_scalarIfEENSA_IdEENSA_IS6_EEb
		.amdhsa_group_segment_fixed_size 1152
		.amdhsa_private_segment_fixed_size 0
		.amdhsa_kernarg_size 376
		.amdhsa_user_sgpr_count 15
		.amdhsa_user_sgpr_dispatch_ptr 0
		.amdhsa_user_sgpr_queue_ptr 0
		.amdhsa_user_sgpr_kernarg_segment_ptr 1
		.amdhsa_user_sgpr_dispatch_id 0
		.amdhsa_user_sgpr_private_segment_size 0
		.amdhsa_wavefront_size32 1
		.amdhsa_uses_dynamic_stack 0
		.amdhsa_enable_private_segment 0
		.amdhsa_system_sgpr_workgroup_id_x 1
		.amdhsa_system_sgpr_workgroup_id_y 0
		.amdhsa_system_sgpr_workgroup_id_z 0
		.amdhsa_system_sgpr_workgroup_info 0
		.amdhsa_system_vgpr_workitem_id 1
		.amdhsa_next_free_vgpr 36
		.amdhsa_next_free_sgpr 46
		.amdhsa_reserve_vcc 1
		.amdhsa_float_round_mode_32 0
		.amdhsa_float_round_mode_16_64 0
		.amdhsa_float_denorm_mode_32 3
		.amdhsa_float_denorm_mode_16_64 3
		.amdhsa_dx10_clamp 1
		.amdhsa_ieee_mode 1
		.amdhsa_fp16_overflow 0
		.amdhsa_workgroup_processor_mode 1
		.amdhsa_memory_ordered 1
		.amdhsa_forward_progress 0
		.amdhsa_shared_vgpr_count 0
		.amdhsa_exception_fp_ieee_invalid_op 0
		.amdhsa_exception_fp_denorm_src 0
		.amdhsa_exception_fp_ieee_div_zero 0
		.amdhsa_exception_fp_ieee_overflow 0
		.amdhsa_exception_fp_ieee_underflow 0
		.amdhsa_exception_fp_ieee_inexact 0
		.amdhsa_exception_int_div_zero 0
	.end_amdhsa_kernel
	.section	.text._ZN9rocsparseL11bsrilu0_2_8ILj64ELj64ELj8E21rocsparse_complex_numIfEEEv20rocsparse_direction_iPKiS5_PT2_S5_iPiS5_S8_21rocsparse_index_base_imNS_24const_host_device_scalarIfEENSA_IdEENSA_IS6_EEb,"axG",@progbits,_ZN9rocsparseL11bsrilu0_2_8ILj64ELj64ELj8E21rocsparse_complex_numIfEEEv20rocsparse_direction_iPKiS5_PT2_S5_iPiS5_S8_21rocsparse_index_base_imNS_24const_host_device_scalarIfEENSA_IdEENSA_IS6_EEb,comdat
.Lfunc_end16:
	.size	_ZN9rocsparseL11bsrilu0_2_8ILj64ELj64ELj8E21rocsparse_complex_numIfEEEv20rocsparse_direction_iPKiS5_PT2_S5_iPiS5_S8_21rocsparse_index_base_imNS_24const_host_device_scalarIfEENSA_IdEENSA_IS6_EEb, .Lfunc_end16-_ZN9rocsparseL11bsrilu0_2_8ILj64ELj64ELj8E21rocsparse_complex_numIfEEEv20rocsparse_direction_iPKiS5_PT2_S5_iPiS5_S8_21rocsparse_index_base_imNS_24const_host_device_scalarIfEENSA_IdEENSA_IS6_EEb
                                        ; -- End function
	.section	.AMDGPU.csdata,"",@progbits
; Kernel info:
; codeLenInByte = 5504
; NumSgprs: 48
; NumVgprs: 36
; ScratchSize: 0
; MemoryBound: 0
; FloatMode: 240
; IeeeMode: 1
; LDSByteSize: 1152 bytes/workgroup (compile time only)
; SGPRBlocks: 5
; VGPRBlocks: 4
; NumSGPRsForWavesPerEU: 48
; NumVGPRsForWavesPerEU: 36
; Occupancy: 16
; WaveLimiterHint : 1
; COMPUTE_PGM_RSRC2:SCRATCH_EN: 0
; COMPUTE_PGM_RSRC2:USER_SGPR: 15
; COMPUTE_PGM_RSRC2:TRAP_HANDLER: 0
; COMPUTE_PGM_RSRC2:TGID_X_EN: 1
; COMPUTE_PGM_RSRC2:TGID_Y_EN: 0
; COMPUTE_PGM_RSRC2:TGID_Z_EN: 0
; COMPUTE_PGM_RSRC2:TIDIG_COMP_CNT: 1
	.section	.text._ZN9rocsparseL12bsrilu0_9_32ILj64ELj64ELj16E21rocsparse_complex_numIfEEEv20rocsparse_direction_iPKiS5_PT2_S5_iPiS5_S8_21rocsparse_index_base_imNS_24const_host_device_scalarIfEENSA_IdEENSA_IS6_EEb,"axG",@progbits,_ZN9rocsparseL12bsrilu0_9_32ILj64ELj64ELj16E21rocsparse_complex_numIfEEEv20rocsparse_direction_iPKiS5_PT2_S5_iPiS5_S8_21rocsparse_index_base_imNS_24const_host_device_scalarIfEENSA_IdEENSA_IS6_EEb,comdat
	.globl	_ZN9rocsparseL12bsrilu0_9_32ILj64ELj64ELj16E21rocsparse_complex_numIfEEEv20rocsparse_direction_iPKiS5_PT2_S5_iPiS5_S8_21rocsparse_index_base_imNS_24const_host_device_scalarIfEENSA_IdEENSA_IS6_EEb ; -- Begin function _ZN9rocsparseL12bsrilu0_9_32ILj64ELj64ELj16E21rocsparse_complex_numIfEEEv20rocsparse_direction_iPKiS5_PT2_S5_iPiS5_S8_21rocsparse_index_base_imNS_24const_host_device_scalarIfEENSA_IdEENSA_IS6_EEb
	.p2align	8
	.type	_ZN9rocsparseL12bsrilu0_9_32ILj64ELj64ELj16E21rocsparse_complex_numIfEEEv20rocsparse_direction_iPKiS5_PT2_S5_iPiS5_S8_21rocsparse_index_base_imNS_24const_host_device_scalarIfEENSA_IdEENSA_IS6_EEb,@function
_ZN9rocsparseL12bsrilu0_9_32ILj64ELj64ELj16E21rocsparse_complex_numIfEEEv20rocsparse_direction_iPKiS5_PT2_S5_iPiS5_S8_21rocsparse_index_base_imNS_24const_host_device_scalarIfEENSA_IdEENSA_IS6_EEb: ; @_ZN9rocsparseL12bsrilu0_9_32ILj64ELj64ELj16E21rocsparse_complex_numIfEEEv20rocsparse_direction_iPKiS5_PT2_S5_iPiS5_S8_21rocsparse_index_base_imNS_24const_host_device_scalarIfEENSA_IdEENSA_IS6_EEb
; %bb.0:
	s_clause 0x2
	s_load_b32 s2, s[0:1], 0x70
	s_load_b64 s[24:25], s[0:1], 0x48
	s_load_b256 s[16:23], s[0:1], 0x50
	s_mov_b32 s6, s15
	s_waitcnt lgkmcnt(0)
	s_bitcmp1_b32 s2, 0
	s_cselect_b32 s4, -1, 0
	s_cmp_lg_u32 s25, 0
	s_cselect_b32 s5, -1, 0
	s_cmp_eq_u32 s25, 0
	s_cselect_b32 s8, -1, 0
	s_delay_alu instid0(SALU_CYCLE_1) | instskip(SKIP_3) | instid1(SALU_CYCLE_1)
	s_and_b32 s2, s8, exec_lo
	s_cselect_b32 s2, 0, s20
	s_cselect_b32 s3, 0, s21
	s_or_b32 s7, s8, s4
	s_and_b32 vcc_lo, exec_lo, s7
	s_xor_b32 s7, s7, -1
	s_cbranch_vccnz .LBB17_2
; %bb.1:
	s_load_b32 s2, s[18:19], 0x0
	s_waitcnt lgkmcnt(0)
	v_mov_b32_e32 v12, s2
	s_mov_b64 s[2:3], s[20:21]
	s_delay_alu instid0(SALU_CYCLE_1)
	v_dual_mov_b32 v1, s2 :: v_dual_mov_b32 v2, s3
	s_and_not1_b32 vcc_lo, exec_lo, s7
	s_cbranch_vccz .LBB17_3
	s_branch .LBB17_4
.LBB17_2:
	v_cndmask_b32_e64 v12, s18, 0, s8
	v_dual_mov_b32 v1, s2 :: v_dual_mov_b32 v2, s3
	s_and_not1_b32 vcc_lo, exec_lo, s7
	s_cbranch_vccnz .LBB17_4
.LBB17_3:
	v_dual_mov_b32 v1, s20 :: v_dual_mov_b32 v2, s21
	flat_load_b64 v[1:2], v[1:2]
.LBB17_4:
	v_cndmask_b32_e64 v11, 0, 1, s5
	s_mov_b32 s36, 0
	s_and_not1_b32 vcc_lo, exec_lo, s5
	s_mov_b32 s33, s36
	s_cbranch_vccnz .LBB17_10
; %bb.5:
	s_xor_b32 s2, s4, -1
	s_mov_b32 s33, s22
	v_cndmask_b32_e64 v3, 0, 1, s2
	s_and_not1_b32 vcc_lo, exec_lo, s2
	s_cbranch_vccnz .LBB17_7
; %bb.6:
	s_load_b32 s33, s[22:23], 0x0
.LBB17_7:
	s_delay_alu instid0(VALU_DEP_1)
	v_cmp_ne_u32_e32 vcc_lo, 1, v3
	s_cbranch_vccnz .LBB17_9
; %bb.8:
	s_load_b32 s23, s[22:23], 0x4
.LBB17_9:
	s_waitcnt lgkmcnt(0)
	s_mov_b32 s36, s23
.LBB17_10:
	s_clause 0x1
	s_load_b128 s[20:23], s[0:1], 0x30
	s_load_b64 s[18:19], s[0:1], 0x40
	s_mov_b32 s7, 0
	s_delay_alu instid0(SALU_CYCLE_1)
	s_lshl_b64 s[2:3], s[6:7], 2
	s_waitcnt lgkmcnt(0)
	s_add_u32 s2, s22, s2
	s_addc_u32 s3, s23, s3
	s_load_b32 s22, s[2:3], 0x0
	s_load_b256 s[8:15], s[0:1], 0x8
	s_waitcnt lgkmcnt(0)
	s_ashr_i32 s23, s22, 31
	s_delay_alu instid0(SALU_CYCLE_1) | instskip(NEXT) | instid1(SALU_CYCLE_1)
	s_lshl_b64 s[26:27], s[22:23], 2
	s_add_u32 s2, s14, s26
	s_addc_u32 s3, s15, s27
	s_load_b32 s28, s[2:3], 0x0
	s_waitcnt lgkmcnt(0)
	s_cmp_eq_u32 s28, -1
	s_cbranch_scc1 .LBB17_107
; %bb.11:
	s_add_u32 s2, s8, s26
	s_addc_u32 s3, s9, s27
	s_load_b64 s[2:3], s[2:3], 0x0
	s_clause 0x1
	s_load_b64 s[30:31], s[0:1], 0x0
	s_load_b32 s23, s[0:1], 0x28
	s_waitcnt lgkmcnt(0)
	s_sub_i32 s34, s2, s24
	s_sub_i32 s25, s3, s24
	s_cmp_ge_i32 s34, s28
	s_cbranch_scc1 .LBB17_96
; %bb.12:
	v_bfe_u32 v13, v0, 10, 10
	v_dual_mov_b32 v22, 0 :: v_dual_and_b32 v3, 0x3ff, v0
	s_cmp_lg_u32 s30, 0
	s_mul_i32 s42, s23, s23
	s_delay_alu instid0(VALU_DEP_2) | instskip(NEXT) | instid1(VALU_DEP_2)
	v_lshlrev_b32_e32 v4, 4, v13
	v_lshlrev_b32_e32 v9, 3, v3
	s_cselect_b32 s29, -1, 0
	s_cmp_gt_i32 s23, 0
	v_cmp_gt_i32_e64 s0, s23, v3
	v_add3_u32 v4, v4, v3, s34
	v_mad_u32_u24 v15, 0x88, v13, v9
	s_cselect_b32 s37, -1, 0
	s_add_i32 s31, s31, 1
	v_cmp_le_i32_e64 s1, s23, v3
	v_ashrrev_i32_e32 v5, 31, v4
	v_mad_u64_u32 v[7:8], null, s23, s34, v[3:4]
	v_cmp_gt_i32_e64 s2, s23, v13
	v_cmp_eq_u32_e64 s3, 0, v13
	s_delay_alu instid0(VALU_DEP_4)
	v_lshlrev_b64 v[5:6], 2, v[4:5]
	v_add_nc_u32_e32 v14, 1, v13
	s_add_u32 s38, s8, 4
	v_cmp_gt_i32_e64 s4, s25, v4
	v_mul_lo_u32 v16, s23, v7
	v_mul_u32_u24_e32 v17, 0x88, v13
	v_add_co_u32 v5, vcc_lo, s10, v5
	v_add_co_ci_u32_e32 v6, vcc_lo, s11, v6, vcc_lo
	v_add_nc_u32_e32 v18, 0x880, v15
	v_add_nc_u32_e32 v19, 0x908, v15
	v_mad_u32_u24 v20, 0x88, v13, 0x88
	v_add_nc_u32_e32 v21, 0x880, v9
	s_addc_u32 s39, s9, 0
	s_add_u32 s40, s10, 0x100
	s_addc_u32 s41, s11, 0
	s_lshl_b32 s43, s23, 4
	s_branch .LBB17_15
.LBB17_13:                              ;   in Loop: Header=BB17_15 Depth=1
	s_mov_b32 s7, -1
.LBB17_14:                              ;   in Loop: Header=BB17_15 Depth=1
	s_add_i32 s34, s34, 1
	v_add_nc_u32_e32 v16, s42, v16
	s_cmp_lt_i32 s34, s28
	s_cselect_b32 s6, -1, 0
	s_delay_alu instid0(SALU_CYCLE_1) | instskip(NEXT) | instid1(SALU_CYCLE_1)
	s_and_b32 s5, s5, s6
	s_and_b32 vcc_lo, exec_lo, s5
	s_cbranch_vccz .LBB17_96
.LBB17_15:                              ; =>This Loop Header: Depth=1
                                        ;     Child Loop BB17_18 Depth 2
                                        ;       Child Loop BB17_21 Depth 3
                                        ;     Child Loop BB17_27 Depth 2
                                        ;     Child Loop BB17_31 Depth 2
                                        ;       Child Loop BB17_34 Depth 3
                                        ;     Child Loop BB17_41 Depth 2
                                        ;       Child Loop BB17_44 Depth 3
                                        ;         Child Loop BB17_48 Depth 4
                                        ;     Child Loop BB17_52 Depth 2
                                        ;       Child Loop BB17_55 Depth 3
                                        ;     Child Loop BB17_64 Depth 2
                                        ;       Child Loop BB17_69 Depth 3
                                        ;       Child Loop BB17_78 Depth 3
                                        ;         Child Loop BB17_81 Depth 4
                                        ;       Child Loop BB17_87 Depth 3
                                        ;         Child Loop BB17_90 Depth 4
                                        ;           Child Loop BB17_91 Depth 5
	s_ashr_i32 s35, s34, 31
	s_delay_alu instid0(SALU_CYCLE_1) | instskip(NEXT) | instid1(SALU_CYCLE_1)
	s_lshl_b64 s[8:9], s[34:35], 2
	s_add_u32 s8, s10, s8
	s_addc_u32 s9, s11, s9
	global_load_b32 v7, v22, s[8:9]
	s_waitcnt vmcnt(0)
	v_readfirstlane_b32 s5, v7
	s_and_saveexec_b32 s6, s0
	s_cbranch_execz .LBB17_25
; %bb.16:                               ;   in Loop: Header=BB17_15 Depth=1
	v_dual_mov_b32 v10, v18 :: v_dual_mov_b32 v23, v16
	v_mov_b32_e32 v7, v3
	s_mul_i32 s8, s34, s23
	s_mov_b32 s9, 0
	s_set_inst_prefetch_distance 0x1
	s_branch .LBB17_18
	.p2align	6
.LBB17_17:                              ;   in Loop: Header=BB17_18 Depth=2
	s_or_b32 exec_lo, exec_lo, s35
	v_add_nc_u32_e32 v7, 16, v7
	v_add_nc_u32_e32 v23, s43, v23
	;; [unrolled: 1-line block ×3, first 2 shown]
	s_delay_alu instid0(VALU_DEP_3) | instskip(SKIP_1) | instid1(SALU_CYCLE_1)
	v_cmp_le_i32_e32 vcc_lo, s23, v7
	s_or_b32 s9, vcc_lo, s9
	s_and_not1_b32 exec_lo, exec_lo, s9
	s_cbranch_execz .LBB17_25
.LBB17_18:                              ;   Parent Loop BB17_15 Depth=1
                                        ; =>  This Loop Header: Depth=2
                                        ;       Child Loop BB17_21 Depth 3
	s_and_saveexec_b32 s35, s2
	s_cbranch_execz .LBB17_17
; %bb.19:                               ;   in Loop: Header=BB17_18 Depth=2
	v_dual_mov_b32 v24, v10 :: v_dual_mov_b32 v25, v13
	s_mov_b32 s44, 0
	s_branch .LBB17_21
	.p2align	6
.LBB17_20:                              ;   in Loop: Header=BB17_21 Depth=3
	s_delay_alu instid0(VALU_DEP_1) | instskip(SKIP_1) | instid1(VALU_DEP_2)
	v_ashrrev_i32_e32 v9, 31, v8
	v_add_nc_u32_e32 v25, 4, v25
	v_lshlrev_b64 v[8:9], 3, v[8:9]
	s_delay_alu instid0(VALU_DEP_1) | instskip(NEXT) | instid1(VALU_DEP_2)
	v_add_co_u32 v8, vcc_lo, s12, v8
	v_add_co_ci_u32_e32 v9, vcc_lo, s13, v9, vcc_lo
	s_delay_alu instid0(VALU_DEP_4)
	v_cmp_le_i32_e32 vcc_lo, s23, v25
	global_load_b64 v[8:9], v[8:9], off
	s_or_b32 s44, vcc_lo, s44
	s_waitcnt vmcnt(0)
	ds_store_b64 v24, v[8:9]
	v_add_nc_u32_e32 v24, 0x220, v24
	s_and_not1_b32 exec_lo, exec_lo, s44
	s_cbranch_execz .LBB17_17
.LBB17_21:                              ;   Parent Loop BB17_15 Depth=1
                                        ;     Parent Loop BB17_18 Depth=2
                                        ; =>    This Inner Loop Header: Depth=3
	s_and_b32 vcc_lo, exec_lo, s29
	s_cbranch_vccz .LBB17_23
; %bb.22:                               ;   in Loop: Header=BB17_21 Depth=3
	v_add_nc_u32_e32 v26, s8, v25
	s_delay_alu instid0(VALU_DEP_1)
	v_mad_u64_u32 v[8:9], null, v26, s23, v[7:8]
	s_cbranch_execnz .LBB17_20
	s_branch .LBB17_24
	.p2align	6
.LBB17_23:                              ;   in Loop: Header=BB17_21 Depth=3
                                        ; implicit-def: $vgpr8
.LBB17_24:                              ;   in Loop: Header=BB17_21 Depth=3
	v_add_nc_u32_e32 v8, v23, v25
	s_branch .LBB17_20
.LBB17_25:                              ;   in Loop: Header=BB17_15 Depth=1
	s_set_inst_prefetch_distance 0x2
	s_or_b32 exec_lo, exec_lo, s6
	s_sub_i32 s8, s5, s24
	s_delay_alu instid0(SALU_CYCLE_1) | instskip(NEXT) | instid1(SALU_CYCLE_1)
	s_ashr_i32 s9, s8, 31
	s_lshl_b64 s[8:9], s[8:9], 2
	s_delay_alu instid0(SALU_CYCLE_1)
	s_add_u32 s44, s14, s8
	s_addc_u32 s45, s15, s9
	global_load_b32 v7, v22, s[44:45]
	s_waitcnt vmcnt(0)
	v_cmp_eq_u32_e32 vcc_lo, -1, v7
	v_readfirstlane_b32 s35, v7
	v_cmp_ne_u32_e64 s5, -1, v7
	s_cbranch_vccnz .LBB17_13
; %bb.26:                               ;   in Loop: Header=BB17_15 Depth=1
	s_add_u32 s44, s38, s8
	s_addc_u32 s45, s39, s9
	s_add_u32 s8, s20, s8
	global_load_b32 v7, v22, s[44:45]
	s_addc_u32 s9, s21, s9
	s_waitcnt vmcnt(0)
	v_readfirstlane_b32 s44, v7
.LBB17_27:                              ;   Parent Loop BB17_15 Depth=1
                                        ; =>  This Inner Loop Header: Depth=2
	global_load_b32 v7, v22, s[8:9] glc
	s_waitcnt vmcnt(0)
	v_cmp_eq_u32_e32 vcc_lo, 0, v7
	s_cbranch_vccnz .LBB17_27
; %bb.28:                               ;   in Loop: Header=BB17_15 Depth=1
	s_waitcnt lgkmcnt(0)
	buffer_gl1_inv
	buffer_gl0_inv
	s_and_saveexec_b32 s6, s0
	s_cbranch_execz .LBB17_38
; %bb.29:                               ;   in Loop: Header=BB17_15 Depth=1
	s_mul_i32 s8, s35, s23
	v_mov_b32_e32 v23, v15
	v_add_nc_u32_e32 v7, s8, v3
	s_mov_b32 s9, 0
	s_delay_alu instid0(VALU_DEP_1)
	v_mul_lo_u32 v10, s23, v7
	v_mov_b32_e32 v7, v3
	s_set_inst_prefetch_distance 0x1
	s_branch .LBB17_31
	.p2align	6
.LBB17_30:                              ;   in Loop: Header=BB17_31 Depth=2
	s_or_b32 exec_lo, exec_lo, s45
	v_add_nc_u32_e32 v7, 16, v7
	v_add_nc_u32_e32 v10, s43, v10
	;; [unrolled: 1-line block ×3, first 2 shown]
	s_delay_alu instid0(VALU_DEP_3) | instskip(SKIP_1) | instid1(SALU_CYCLE_1)
	v_cmp_le_i32_e32 vcc_lo, s23, v7
	s_or_b32 s9, vcc_lo, s9
	s_and_not1_b32 exec_lo, exec_lo, s9
	s_cbranch_execz .LBB17_38
.LBB17_31:                              ;   Parent Loop BB17_15 Depth=1
                                        ; =>  This Loop Header: Depth=2
                                        ;       Child Loop BB17_34 Depth 3
	s_and_saveexec_b32 s45, s2
	s_cbranch_execz .LBB17_30
; %bb.32:                               ;   in Loop: Header=BB17_31 Depth=2
	v_dual_mov_b32 v24, v23 :: v_dual_mov_b32 v25, v13
	s_mov_b32 s46, 0
	s_branch .LBB17_34
	.p2align	6
.LBB17_33:                              ;   in Loop: Header=BB17_34 Depth=3
	s_delay_alu instid0(VALU_DEP_1) | instskip(SKIP_1) | instid1(VALU_DEP_2)
	v_ashrrev_i32_e32 v9, 31, v8
	v_add_nc_u32_e32 v25, 4, v25
	v_lshlrev_b64 v[8:9], 3, v[8:9]
	s_delay_alu instid0(VALU_DEP_1) | instskip(NEXT) | instid1(VALU_DEP_2)
	v_add_co_u32 v8, vcc_lo, s12, v8
	v_add_co_ci_u32_e32 v9, vcc_lo, s13, v9, vcc_lo
	s_delay_alu instid0(VALU_DEP_4)
	v_cmp_le_i32_e32 vcc_lo, s23, v25
	global_load_b64 v[8:9], v[8:9], off
	s_or_b32 s46, vcc_lo, s46
	s_waitcnt vmcnt(0)
	ds_store_b64 v24, v[8:9]
	v_add_nc_u32_e32 v24, 0x220, v24
	s_and_not1_b32 exec_lo, exec_lo, s46
	s_cbranch_execz .LBB17_30
.LBB17_34:                              ;   Parent Loop BB17_15 Depth=1
                                        ;     Parent Loop BB17_31 Depth=2
                                        ; =>    This Inner Loop Header: Depth=3
	s_and_b32 vcc_lo, exec_lo, s29
	s_cbranch_vccz .LBB17_36
; %bb.35:                               ;   in Loop: Header=BB17_34 Depth=3
	v_add_nc_u32_e32 v26, s8, v25
	s_delay_alu instid0(VALU_DEP_1)
	v_mad_u64_u32 v[8:9], null, v26, s23, v[7:8]
	s_cbranch_execnz .LBB17_33
	s_branch .LBB17_37
	.p2align	6
.LBB17_36:                              ;   in Loop: Header=BB17_34 Depth=3
                                        ; implicit-def: $vgpr8
.LBB17_37:                              ;   in Loop: Header=BB17_34 Depth=3
	v_add_nc_u32_e32 v8, v10, v25
	s_branch .LBB17_33
.LBB17_38:                              ;   in Loop: Header=BB17_15 Depth=1
	s_set_inst_prefetch_distance 0x2
	s_or_b32 exec_lo, exec_lo, s6
	s_delay_alu instid0(SALU_CYCLE_1)
	s_and_not1_b32 vcc_lo, exec_lo, s37
	s_waitcnt lgkmcnt(0)
	buffer_gl0_inv
	s_cbranch_vccnz .LBB17_49
; %bb.39:                               ;   in Loop: Header=BB17_15 Depth=1
	v_dual_mov_b32 v23, v20 :: v_dual_mov_b32 v24, v19
	s_mov_b32 s8, 0
	s_branch .LBB17_41
.LBB17_40:                              ;   in Loop: Header=BB17_41 Depth=2
	s_or_b32 exec_lo, exec_lo, s9
	v_add_nc_u32_e32 v24, 0x88, v24
	v_add_nc_u32_e32 v23, 0x90, v23
	s_add_i32 s8, s8, 1
	s_waitcnt lgkmcnt(0)
	buffer_gl0_inv
	s_cmp_eq_u32 s8, s23
	s_cbranch_scc1 .LBB17_49
.LBB17_41:                              ;   Parent Loop BB17_15 Depth=1
                                        ; =>  This Loop Header: Depth=2
                                        ;       Child Loop BB17_44 Depth 3
                                        ;         Child Loop BB17_48 Depth 4
	s_and_saveexec_b32 s9, s0
	s_cbranch_execz .LBB17_40
; %bb.42:                               ;   in Loop: Header=BB17_41 Depth=2
	s_lshl_b32 s6, s8, 3
	s_mul_i32 s45, s8, 0x88
	s_mov_b32 s46, 0
	s_add_i32 s6, s45, s6
	s_delay_alu instid0(SALU_CYCLE_1) | instskip(SKIP_3) | instid1(VALU_DEP_1)
	v_mov_b32_e32 v7, s6
	ds_load_b64 v[7:8], v7
	s_waitcnt lgkmcnt(0)
	v_mul_f32_e32 v9, v8, v8
	v_fmac_f32_e32 v9, v7, v7
	s_delay_alu instid0(VALU_DEP_1) | instskip(SKIP_1) | instid1(VALU_DEP_2)
	v_div_scale_f32 v10, null, v9, v9, 1.0
	v_div_scale_f32 v27, vcc_lo, 1.0, v9, 1.0
	v_rcp_f32_e32 v26, v10
	s_waitcnt_depctr 0xfff
	v_fma_f32 v25, -v10, v26, 1.0
	s_delay_alu instid0(VALU_DEP_1) | instskip(NEXT) | instid1(VALU_DEP_1)
	v_fmac_f32_e32 v26, v25, v26
	v_mul_f32_e32 v28, v27, v26
	s_delay_alu instid0(VALU_DEP_1) | instskip(NEXT) | instid1(VALU_DEP_1)
	v_fma_f32 v25, -v10, v28, v27
	v_fmac_f32_e32 v28, v25, v26
	v_add_nc_u32_e32 v25, s8, v14
	s_delay_alu instid0(VALU_DEP_2) | instskip(NEXT) | instid1(VALU_DEP_1)
	v_fma_f32 v10, -v10, v28, v27
	v_div_fmas_f32 v10, v10, v26, v28
	v_mov_b32_e32 v26, v24
	s_delay_alu instid0(VALU_DEP_4) | instskip(SKIP_1) | instid1(VALU_DEP_4)
	v_cmp_gt_i32_e32 vcc_lo, s23, v25
	v_mov_b32_e32 v28, v3
	v_div_fixup_f32 v27, v10, v9, 1.0
	s_branch .LBB17_44
.LBB17_43:                              ;   in Loop: Header=BB17_44 Depth=3
	s_or_b32 exec_lo, exec_lo, s47
	v_add_nc_u32_e32 v28, 16, v28
	v_add_nc_u32_e32 v26, 0x80, v26
	s_delay_alu instid0(VALU_DEP_2) | instskip(NEXT) | instid1(VALU_DEP_1)
	v_cmp_le_i32_e64 s6, s23, v28
	s_or_b32 s46, s6, s46
	s_delay_alu instid0(SALU_CYCLE_1)
	s_and_not1_b32 exec_lo, exec_lo, s46
	s_cbranch_execz .LBB17_40
.LBB17_44:                              ;   Parent Loop BB17_15 Depth=1
                                        ;     Parent Loop BB17_41 Depth=2
                                        ; =>    This Loop Header: Depth=3
                                        ;         Child Loop BB17_48 Depth 4
	s_delay_alu instid0(VALU_DEP_2) | instskip(SKIP_4) | instid1(VALU_DEP_1)
	v_lshl_add_u32 v29, v28, 3, s45
	ds_load_b64 v[9:10], v29 offset:2176
	s_waitcnt lgkmcnt(0)
	buffer_gl0_inv
	v_mul_f32_e64 v31, v8, -v9
	v_dual_mul_f32 v30, v8, v10 :: v_dual_fmac_f32 v31, v10, v7
	s_delay_alu instid0(VALU_DEP_1) | instskip(NEXT) | instid1(VALU_DEP_2)
	v_fmac_f32_e32 v30, v9, v7
	v_mul_f32_e32 v10, v27, v31
	s_delay_alu instid0(VALU_DEP_2)
	v_mul_f32_e32 v9, v27, v30
	s_and_saveexec_b32 s6, s3
	s_cbranch_execz .LBB17_46
; %bb.45:                               ;   in Loop: Header=BB17_44 Depth=3
	v_add_nc_u32_e32 v29, 0x880, v29
	ds_store_b64 v29, v[9:10]
.LBB17_46:                              ;   in Loop: Header=BB17_44 Depth=3
	s_or_b32 exec_lo, exec_lo, s6
	s_and_saveexec_b32 s47, vcc_lo
	s_cbranch_execz .LBB17_43
; %bb.47:                               ;   in Loop: Header=BB17_44 Depth=3
	v_dual_mov_b32 v29, v23 :: v_dual_mov_b32 v30, v26
	v_mov_b32_e32 v31, v25
	s_mov_b32 s48, 0
	.p2align	6
.LBB17_48:                              ;   Parent Loop BB17_15 Depth=1
                                        ;     Parent Loop BB17_41 Depth=2
                                        ;       Parent Loop BB17_44 Depth=3
                                        ; =>      This Inner Loop Header: Depth=4
	ds_load_b64 v[32:33], v29
	ds_load_b64 v[34:35], v30
	v_add_nc_u32_e32 v29, 0x220, v29
	s_waitcnt lgkmcnt(0)
	v_fma_f32 v34, -v9, v32, v34
	v_fma_f32 v32, -v10, v32, v35
	s_delay_alu instid0(VALU_DEP_2) | instskip(NEXT) | instid1(VALU_DEP_2)
	v_dual_fmac_f32 v34, v10, v33 :: v_dual_add_nc_u32 v31, 4, v31
	v_fma_f32 v35, -v9, v33, v32
	s_delay_alu instid0(VALU_DEP_2) | instskip(SKIP_3) | instid1(SALU_CYCLE_1)
	v_cmp_le_i32_e64 s6, s23, v31
	ds_store_b64 v30, v[34:35]
	v_add_nc_u32_e32 v30, 0x220, v30
	s_or_b32 s48, s6, s48
	s_and_not1_b32 exec_lo, exec_lo, s48
	s_cbranch_execnz .LBB17_48
	s_branch .LBB17_43
.LBB17_49:                              ;   in Loop: Header=BB17_15 Depth=1
	s_and_saveexec_b32 s8, s0
	s_cbranch_execz .LBB17_59
; %bb.50:                               ;   in Loop: Header=BB17_15 Depth=1
	v_dual_mov_b32 v10, v18 :: v_dual_mov_b32 v23, v16
	v_mov_b32_e32 v7, v3
	s_mul_i32 s9, s34, s23
	s_mov_b32 s45, 0
	s_set_inst_prefetch_distance 0x1
	s_branch .LBB17_52
	.p2align	6
.LBB17_51:                              ;   in Loop: Header=BB17_52 Depth=2
	s_or_b32 exec_lo, exec_lo, s46
	v_add_nc_u32_e32 v7, 16, v7
	v_add_nc_u32_e32 v23, s43, v23
	;; [unrolled: 1-line block ×3, first 2 shown]
	s_delay_alu instid0(VALU_DEP_3) | instskip(SKIP_1) | instid1(SALU_CYCLE_1)
	v_cmp_le_i32_e32 vcc_lo, s23, v7
	s_or_b32 s45, vcc_lo, s45
	s_and_not1_b32 exec_lo, exec_lo, s45
	s_cbranch_execz .LBB17_59
.LBB17_52:                              ;   Parent Loop BB17_15 Depth=1
                                        ; =>  This Loop Header: Depth=2
                                        ;       Child Loop BB17_55 Depth 3
	s_and_saveexec_b32 s46, s2
	s_cbranch_execz .LBB17_51
; %bb.53:                               ;   in Loop: Header=BB17_52 Depth=2
	v_dual_mov_b32 v24, v10 :: v_dual_mov_b32 v25, v13
	s_mov_b32 s47, 0
	s_branch .LBB17_55
	.p2align	6
.LBB17_54:                              ;   in Loop: Header=BB17_55 Depth=3
	ds_load_b64 v[26:27], v24
	v_ashrrev_i32_e32 v9, 31, v8
	v_add_nc_u32_e32 v25, 4, v25
	v_add_nc_u32_e32 v24, 0x220, v24
	s_delay_alu instid0(VALU_DEP_3) | instskip(NEXT) | instid1(VALU_DEP_3)
	v_lshlrev_b64 v[8:9], 3, v[8:9]
	v_cmp_le_i32_e32 vcc_lo, s23, v25
	s_or_b32 s47, vcc_lo, s47
	s_delay_alu instid0(VALU_DEP_2) | instskip(NEXT) | instid1(VALU_DEP_1)
	v_add_co_u32 v8, s6, s12, v8
	v_add_co_ci_u32_e64 v9, s6, s13, v9, s6
	s_waitcnt lgkmcnt(0)
	global_store_b64 v[8:9], v[26:27], off
	s_and_not1_b32 exec_lo, exec_lo, s47
	s_cbranch_execz .LBB17_51
.LBB17_55:                              ;   Parent Loop BB17_15 Depth=1
                                        ;     Parent Loop BB17_52 Depth=2
                                        ; =>    This Inner Loop Header: Depth=3
	s_and_b32 vcc_lo, exec_lo, s29
	s_cbranch_vccz .LBB17_57
; %bb.56:                               ;   in Loop: Header=BB17_55 Depth=3
	v_add_nc_u32_e32 v26, s9, v25
	s_delay_alu instid0(VALU_DEP_1)
	v_mad_u64_u32 v[8:9], null, v26, s23, v[7:8]
	s_cbranch_execnz .LBB17_54
	s_branch .LBB17_58
	.p2align	6
.LBB17_57:                              ;   in Loop: Header=BB17_55 Depth=3
                                        ; implicit-def: $vgpr8
.LBB17_58:                              ;   in Loop: Header=BB17_55 Depth=3
	v_add_nc_u32_e32 v8, v23, v25
	s_branch .LBB17_54
.LBB17_59:                              ;   in Loop: Header=BB17_15 Depth=1
	s_set_inst_prefetch_distance 0x2
	s_or_b32 exec_lo, exec_lo, s8
	s_sub_i32 s6, s44, s24
	s_add_i32 s8, s35, 1
	s_delay_alu instid0(SALU_CYCLE_1)
	s_cmp_ge_i32 s8, s6
	s_cbranch_scc1 .LBB17_14
; %bb.60:                               ;   in Loop: Header=BB17_15 Depth=1
	v_mad_u64_u32 v[7:8], null, s23, s8, v[3:4]
	s_delay_alu instid0(VALU_DEP_1)
	v_mul_lo_u32 v10, s23, v7
	s_branch .LBB17_64
.LBB17_61:                              ;   in Loop: Header=BB17_64 Depth=2
	s_or_b32 exec_lo, exec_lo, s35
.LBB17_62:                              ;   in Loop: Header=BB17_64 Depth=2
	s_delay_alu instid0(SALU_CYCLE_1)
	s_or_b32 exec_lo, exec_lo, s9
.LBB17_63:                              ;   in Loop: Header=BB17_64 Depth=2
	v_add_nc_u32_e32 v10, s42, v10
	s_add_i32 s8, s8, 1
	s_waitcnt lgkmcnt(0)
	s_waitcnt_vscnt null, 0x0
	buffer_gl0_inv
	s_cmp_lt_i32 s8, s6
	s_cbranch_scc0 .LBB17_14
.LBB17_64:                              ;   Parent Loop BB17_15 Depth=1
                                        ; =>  This Loop Header: Depth=2
                                        ;       Child Loop BB17_69 Depth 3
                                        ;       Child Loop BB17_78 Depth 3
                                        ;         Child Loop BB17_81 Depth 4
                                        ;       Child Loop BB17_87 Depth 3
                                        ;         Child Loop BB17_90 Depth 4
                                        ;           Child Loop BB17_91 Depth 5
	s_ashr_i32 s9, s8, 31
	v_mov_b32_e32 v8, s31
	s_lshl_b64 s[44:45], s[8:9], 2
	s_delay_alu instid0(SALU_CYCLE_1)
	s_add_u32 s44, s10, s44
	s_addc_u32 s45, s11, s45
	global_load_b32 v7, v22, s[44:45]
	s_and_saveexec_b32 s9, s4
	s_cbranch_execz .LBB17_66
; %bb.65:                               ;   in Loop: Header=BB17_64 Depth=2
	global_load_b32 v8, v[5:6], off
	s_waitcnt vmcnt(0)
	v_subrev_nc_u32_e32 v8, s24, v8
.LBB17_66:                              ;   in Loop: Header=BB17_64 Depth=2
	s_or_b32 exec_lo, exec_lo, s9
	s_waitcnt vmcnt(0)
	v_subrev_nc_u32_e32 v9, s24, v7
	v_mov_b32_e32 v23, v4
	s_mov_b32 s9, exec_lo
	s_delay_alu instid0(VALU_DEP_2)
	v_cmpx_lt_i32_e64 v8, v9
	s_cbranch_execz .LBB17_72
; %bb.67:                               ;   in Loop: Header=BB17_64 Depth=2
	v_mov_b32_e32 v7, v4
	s_mov_b32 s35, 0
	s_branch .LBB17_69
	.p2align	6
.LBB17_68:                              ;   in Loop: Header=BB17_69 Depth=3
	s_or_b32 exec_lo, exec_lo, s44
	s_delay_alu instid0(VALU_DEP_1) | instskip(SKIP_2) | instid1(SALU_CYCLE_1)
	v_cmp_ge_i32_e32 vcc_lo, v8, v9
	v_mov_b32_e32 v7, v23
	s_or_b32 s35, vcc_lo, s35
	s_and_not1_b32 exec_lo, exec_lo, s35
	s_cbranch_execz .LBB17_71
.LBB17_69:                              ;   Parent Loop BB17_15 Depth=1
                                        ;     Parent Loop BB17_64 Depth=2
                                        ; =>    This Inner Loop Header: Depth=3
	s_delay_alu instid0(VALU_DEP_1) | instskip(SKIP_1) | instid1(VALU_DEP_1)
	v_dual_mov_b32 v8, s31 :: v_dual_add_nc_u32 v23, 64, v7
	s_mov_b32 s44, exec_lo
	v_cmpx_gt_i32_e64 s25, v23
	s_cbranch_execz .LBB17_68
; %bb.70:                               ;   in Loop: Header=BB17_69 Depth=3
	v_ashrrev_i32_e32 v8, 31, v7
	s_delay_alu instid0(VALU_DEP_1) | instskip(NEXT) | instid1(VALU_DEP_1)
	v_lshlrev_b64 v[7:8], 2, v[7:8]
	v_add_co_u32 v7, vcc_lo, s40, v7
	s_delay_alu instid0(VALU_DEP_2)
	v_add_co_ci_u32_e32 v8, vcc_lo, s41, v8, vcc_lo
	global_load_b32 v7, v[7:8], off
	s_waitcnt vmcnt(0)
	v_subrev_nc_u32_e32 v8, s24, v7
	s_branch .LBB17_68
.LBB17_71:                              ;   in Loop: Header=BB17_64 Depth=2
	s_or_b32 exec_lo, exec_lo, s35
.LBB17_72:                              ;   in Loop: Header=BB17_64 Depth=2
	s_delay_alu instid0(SALU_CYCLE_1)
	s_or_b32 exec_lo, exec_lo, s9
	v_cmp_eq_u32_e32 vcc_lo, v8, v9
	s_cbranch_vccz .LBB17_63
; %bb.73:                               ;   in Loop: Header=BB17_64 Depth=2
	s_ctz_i32_b32 s9, vcc_lo
	s_delay_alu instid0(SALU_CYCLE_1) | instskip(NEXT) | instid1(SALU_CYCLE_1)
	s_lshl_b32 s9, s9, 2
	v_mov_b32_e32 v7, s9
	ds_bpermute_b32 v23, v7, v23
	s_and_saveexec_b32 s9, s1
	s_delay_alu instid0(SALU_CYCLE_1)
	s_xor_b32 s9, exec_lo, s9
	s_cbranch_execz .LBB17_75
; %bb.74:                               ;   in Loop: Header=BB17_64 Depth=2
	s_waitcnt lgkmcnt(0)
	s_waitcnt_vscnt null, 0x0
	buffer_gl0_inv
                                        ; implicit-def: $vgpr23
.LBB17_75:                              ;   in Loop: Header=BB17_64 Depth=2
	s_and_not1_saveexec_b32 s9, s9
	s_cbranch_execz .LBB17_62
; %bb.76:                               ;   in Loop: Header=BB17_64 Depth=2
	v_dual_mov_b32 v24, v15 :: v_dual_mov_b32 v25, v10
	v_mov_b32_e32 v7, v3
	s_mul_i32 s44, s8, s23
	s_mov_b32 s35, 0
	s_set_inst_prefetch_distance 0x1
	s_branch .LBB17_78
	.p2align	6
.LBB17_77:                              ;   in Loop: Header=BB17_78 Depth=3
	s_or_b32 exec_lo, exec_lo, s45
	v_add_nc_u32_e32 v7, 16, v7
	v_add_nc_u32_e32 v25, s43, v25
	;; [unrolled: 1-line block ×3, first 2 shown]
	s_delay_alu instid0(VALU_DEP_3) | instskip(SKIP_1) | instid1(SALU_CYCLE_1)
	v_cmp_le_i32_e32 vcc_lo, s23, v7
	s_or_b32 s35, vcc_lo, s35
	s_and_not1_b32 exec_lo, exec_lo, s35
	s_cbranch_execz .LBB17_85
.LBB17_78:                              ;   Parent Loop BB17_15 Depth=1
                                        ;     Parent Loop BB17_64 Depth=2
                                        ; =>    This Loop Header: Depth=3
                                        ;         Child Loop BB17_81 Depth 4
	s_and_saveexec_b32 s45, s2
	s_cbranch_execz .LBB17_77
; %bb.79:                               ;   in Loop: Header=BB17_78 Depth=3
	v_dual_mov_b32 v26, v24 :: v_dual_mov_b32 v27, v13
	s_mov_b32 s46, 0
	s_branch .LBB17_81
	.p2align	6
.LBB17_80:                              ;   in Loop: Header=BB17_81 Depth=4
	s_delay_alu instid0(VALU_DEP_1) | instskip(SKIP_1) | instid1(VALU_DEP_2)
	v_ashrrev_i32_e32 v9, 31, v8
	v_add_nc_u32_e32 v27, 4, v27
	v_lshlrev_b64 v[8:9], 3, v[8:9]
	s_delay_alu instid0(VALU_DEP_1) | instskip(NEXT) | instid1(VALU_DEP_2)
	v_add_co_u32 v8, vcc_lo, s12, v8
	v_add_co_ci_u32_e32 v9, vcc_lo, s13, v9, vcc_lo
	s_delay_alu instid0(VALU_DEP_4)
	v_cmp_le_i32_e32 vcc_lo, s23, v27
	global_load_b64 v[8:9], v[8:9], off
	s_or_b32 s46, vcc_lo, s46
	s_waitcnt vmcnt(0)
	ds_store_b64 v26, v[8:9]
	v_add_nc_u32_e32 v26, 0x220, v26
	s_and_not1_b32 exec_lo, exec_lo, s46
	s_cbranch_execz .LBB17_77
.LBB17_81:                              ;   Parent Loop BB17_15 Depth=1
                                        ;     Parent Loop BB17_64 Depth=2
                                        ;       Parent Loop BB17_78 Depth=3
                                        ; =>      This Inner Loop Header: Depth=4
	s_and_b32 vcc_lo, exec_lo, s29
	s_cbranch_vccz .LBB17_83
; %bb.82:                               ;   in Loop: Header=BB17_81 Depth=4
	v_add_nc_u32_e32 v28, s44, v27
	s_delay_alu instid0(VALU_DEP_1)
	v_mad_u64_u32 v[8:9], null, v28, s23, v[7:8]
	s_cbranch_execnz .LBB17_80
	s_branch .LBB17_84
	.p2align	6
.LBB17_83:                              ;   in Loop: Header=BB17_81 Depth=4
                                        ; implicit-def: $vgpr8
.LBB17_84:                              ;   in Loop: Header=BB17_81 Depth=4
	v_add_nc_u32_e32 v8, v25, v27
	s_branch .LBB17_80
.LBB17_85:                              ;   in Loop: Header=BB17_64 Depth=2
	s_set_inst_prefetch_distance 0x2
	s_or_b32 exec_lo, exec_lo, s35
	s_waitcnt lgkmcnt(0)
	v_mul_lo_u32 v23, v23, s23
	v_dual_mov_b32 v24, v21 :: v_dual_mov_b32 v7, v3
	s_mov_b32 s35, 0
	s_waitcnt_vscnt null, 0x0
	buffer_gl0_inv
	s_branch .LBB17_87
.LBB17_86:                              ;   in Loop: Header=BB17_87 Depth=3
	s_or_b32 exec_lo, exec_lo, s44
	v_add_nc_u32_e32 v7, 16, v7
	v_add_nc_u32_e32 v24, 0x80, v24
	s_delay_alu instid0(VALU_DEP_2) | instskip(SKIP_1) | instid1(SALU_CYCLE_1)
	v_cmp_le_i32_e32 vcc_lo, s23, v7
	s_or_b32 s35, vcc_lo, s35
	s_and_not1_b32 exec_lo, exec_lo, s35
	s_cbranch_execz .LBB17_61
.LBB17_87:                              ;   Parent Loop BB17_15 Depth=1
                                        ;     Parent Loop BB17_64 Depth=2
                                        ; =>    This Loop Header: Depth=3
                                        ;         Child Loop BB17_90 Depth 4
                                        ;           Child Loop BB17_91 Depth 5
	s_and_saveexec_b32 s44, s2
	s_cbranch_execz .LBB17_86
; %bb.88:                               ;   in Loop: Header=BB17_87 Depth=3
	v_dual_mov_b32 v27, v13 :: v_dual_add_nc_u32 v8, v7, v23
	v_mov_b32_e32 v26, v17
	s_mov_b32 s45, 0
	s_delay_alu instid0(VALU_DEP_2)
	v_mul_lo_u32 v25, v8, s23
	s_branch .LBB17_90
.LBB17_89:                              ;   in Loop: Header=BB17_90 Depth=4
	s_delay_alu instid0(VALU_DEP_1) | instskip(SKIP_1) | instid1(VALU_DEP_2)
	v_ashrrev_i32_e32 v9, 31, v8
	v_add_nc_u32_e32 v26, 0x220, v26
	v_lshlrev_b64 v[8:9], 3, v[8:9]
	s_delay_alu instid0(VALU_DEP_1) | instskip(NEXT) | instid1(VALU_DEP_2)
	v_add_co_u32 v8, vcc_lo, s12, v8
	v_add_co_ci_u32_e32 v9, vcc_lo, s13, v9, vcc_lo
	global_load_b64 v[30:31], v[8:9], off
	s_waitcnt vmcnt(0)
	v_dual_sub_f32 v28, v30, v28 :: v_dual_add_nc_u32 v27, 4, v27
	s_delay_alu instid0(VALU_DEP_1)
	v_cmp_le_i32_e32 vcc_lo, s23, v27
	v_sub_f32_e32 v29, v31, v29
	s_or_b32 s45, vcc_lo, s45
	global_store_b64 v[8:9], v[28:29], off
	s_and_not1_b32 exec_lo, exec_lo, s45
	s_cbranch_execz .LBB17_86
.LBB17_90:                              ;   Parent Loop BB17_15 Depth=1
                                        ;     Parent Loop BB17_64 Depth=2
                                        ;       Parent Loop BB17_87 Depth=3
                                        ; =>      This Loop Header: Depth=4
                                        ;           Child Loop BB17_91 Depth 5
	s_delay_alu instid0(VALU_DEP_2)
	v_dual_mov_b32 v28, 0 :: v_dual_mov_b32 v9, v26
	v_dual_mov_b32 v8, v24 :: v_dual_mov_b32 v29, 0
	s_mov_b32 s46, s23
.LBB17_91:                              ;   Parent Loop BB17_15 Depth=1
                                        ;     Parent Loop BB17_64 Depth=2
                                        ;       Parent Loop BB17_87 Depth=3
                                        ;         Parent Loop BB17_90 Depth=4
                                        ; =>        This Inner Loop Header: Depth=5
	ds_load_b64 v[30:31], v8
	ds_load_b64 v[32:33], v9
	s_add_i32 s46, s46, -1
	v_add_nc_u32_e32 v9, 8, v9
	s_cmp_eq_u32 s46, 0
	s_waitcnt lgkmcnt(0)
	v_fmac_f32_e32 v28, v30, v32
	v_fmac_f32_e32 v29, v31, v32
	v_add_nc_u32_e32 v8, 0x88, v8
	s_delay_alu instid0(VALU_DEP_3) | instskip(NEXT) | instid1(VALU_DEP_3)
	v_fma_f32 v28, -v31, v33, v28
	v_fmac_f32_e32 v29, v30, v33
	s_cbranch_scc0 .LBB17_91
; %bb.92:                               ;   in Loop: Header=BB17_90 Depth=4
	s_and_b32 vcc_lo, exec_lo, s29
	s_cbranch_vccz .LBB17_94
; %bb.93:                               ;   in Loop: Header=BB17_90 Depth=4
	v_add_nc_u32_e32 v30, v27, v23
	s_delay_alu instid0(VALU_DEP_1)
	v_mad_u64_u32 v[8:9], null, v30, s23, v[7:8]
	s_cbranch_execnz .LBB17_89
	s_branch .LBB17_95
.LBB17_94:                              ;   in Loop: Header=BB17_90 Depth=4
                                        ; implicit-def: $vgpr8
.LBB17_95:                              ;   in Loop: Header=BB17_90 Depth=4
	v_add_nc_u32_e32 v8, v27, v25
	s_branch .LBB17_89
.LBB17_96:
	s_ashr_i32 s29, s28, 31
	v_mov_b32_e32 v3, 0
	s_lshl_b64 s[0:1], s[28:29], 2
	s_delay_alu instid0(SALU_CYCLE_1) | instskip(SKIP_4) | instid1(VALU_DEP_1)
	s_add_u32 s0, s10, s0
	s_addc_u32 s1, s11, s1
	global_load_b32 v3, v3, s[0:1]
	s_waitcnt vmcnt(0)
	v_subrev_nc_u32_e32 v3, s24, v3
	v_cmp_ne_u32_e32 vcc_lo, s22, v3
	s_cbranch_vccnz .LBB17_147
; %bb.97:
	v_and_b32_e32 v3, 0x3ff, v0
	s_delay_alu instid0(VALU_DEP_1) | instskip(SKIP_1) | instid1(VALU_DEP_2)
	v_cmp_gt_i32_e64 s0, s23, v3
	v_lshlrev_b32_e32 v10, 3, v3
	s_and_saveexec_b32 s2, s0
	s_cbranch_execz .LBB17_108
; %bb.98:
	s_mul_i32 s3, s28, s23
	v_bfe_u32 v7, v0, 10, 10
	v_add_nc_u32_e32 v4, s3, v3
	v_lshlrev_b32_e32 v5, 3, v3
	s_cmp_lg_u32 s30, 0
	s_mov_b32 s4, 0
	v_cmp_gt_u32_e64 s1, s23, v7
	v_mul_lo_u32 v8, s23, v4
	v_mov_b32_e32 v4, v3
	v_mad_u32_u24 v9, 0x88, v7, v5
	s_cselect_b32 s5, -1, 0
	s_lshl_b32 s6, s23, 4
	s_set_inst_prefetch_distance 0x1
	s_branch .LBB17_100
	.p2align	6
.LBB17_99:                              ;   in Loop: Header=BB17_100 Depth=1
	s_or_b32 exec_lo, exec_lo, s8
	v_add_nc_u32_e32 v4, 16, v4
	v_add_nc_u32_e32 v8, s6, v8
	;; [unrolled: 1-line block ×3, first 2 shown]
	s_delay_alu instid0(VALU_DEP_3) | instskip(SKIP_1) | instid1(SALU_CYCLE_1)
	v_cmp_le_i32_e32 vcc_lo, s23, v4
	s_or_b32 s4, vcc_lo, s4
	s_and_not1_b32 exec_lo, exec_lo, s4
	s_cbranch_execz .LBB17_108
.LBB17_100:                             ; =>This Loop Header: Depth=1
                                        ;     Child Loop BB17_103 Depth 2
	s_and_saveexec_b32 s8, s1
	s_cbranch_execz .LBB17_99
; %bb.101:                              ;   in Loop: Header=BB17_100 Depth=1
	v_dual_mov_b32 v13, v9 :: v_dual_mov_b32 v14, v7
	s_mov_b32 s9, 0
	s_branch .LBB17_103
	.p2align	6
.LBB17_102:                             ;   in Loop: Header=BB17_103 Depth=2
	s_delay_alu instid0(VALU_DEP_1) | instskip(SKIP_1) | instid1(VALU_DEP_2)
	v_ashrrev_i32_e32 v6, 31, v5
	v_add_nc_u32_e32 v14, 4, v14
	v_lshlrev_b64 v[5:6], 3, v[5:6]
	s_delay_alu instid0(VALU_DEP_1) | instskip(NEXT) | instid1(VALU_DEP_2)
	v_add_co_u32 v5, vcc_lo, s12, v5
	v_add_co_ci_u32_e32 v6, vcc_lo, s13, v6, vcc_lo
	s_delay_alu instid0(VALU_DEP_4)
	v_cmp_le_i32_e32 vcc_lo, s23, v14
	global_load_b64 v[5:6], v[5:6], off
	s_or_b32 s9, vcc_lo, s9
	s_waitcnt vmcnt(0)
	ds_store_b64 v13, v[5:6]
	v_add_nc_u32_e32 v13, 0x220, v13
	s_and_not1_b32 exec_lo, exec_lo, s9
	s_cbranch_execz .LBB17_99
.LBB17_103:                             ;   Parent Loop BB17_100 Depth=1
                                        ; =>  This Inner Loop Header: Depth=2
	s_and_b32 vcc_lo, exec_lo, s5
	s_cbranch_vccz .LBB17_105
; %bb.104:                              ;   in Loop: Header=BB17_103 Depth=2
	v_add_nc_u32_e32 v15, s3, v14
	s_delay_alu instid0(VALU_DEP_1)
	v_mad_u64_u32 v[5:6], null, v15, s23, v[4:5]
	s_cbranch_execnz .LBB17_102
	s_branch .LBB17_106
	.p2align	6
.LBB17_105:                             ;   in Loop: Header=BB17_103 Depth=2
                                        ; implicit-def: $vgpr5
.LBB17_106:                             ;   in Loop: Header=BB17_103 Depth=2
	v_add_nc_u32_e32 v5, v8, v14
	s_branch .LBB17_102
.LBB17_107:
	s_mov_b32 s7, -1
	s_branch .LBB17_180
.LBB17_108:
	s_set_inst_prefetch_distance 0x2
	s_or_b32 exec_lo, exec_lo, s2
	s_cmp_lt_i32 s23, 1
	s_waitcnt lgkmcnt(0)
	s_waitcnt_vscnt null, 0x0
	buffer_gl0_inv
	s_cbranch_scc1 .LBB17_136
; %bb.109:
	v_cvt_f64_f32_e32 v[4:5], v12
	v_bfe_u32 v12, v0, 10, 10
	s_cmp_eq_u64 s[16:17], 8
	s_mov_b32 s4, 0
	s_cselect_b32 vcc_lo, -1, 0
	s_delay_alu instid0(VALU_DEP_1) | instskip(SKIP_1) | instid1(VALU_DEP_2)
	v_or_b32_e32 v6, v3, v12
	v_cmp_eq_u32_e64 s1, 0, v12
	v_cmp_eq_u32_e64 s2, 0, v6
	v_dual_cndmask_b32 v2, v5, v2 :: v_dual_cndmask_b32 v1, v4, v1
	v_mad_u32_u24 v4, 0x88, v12, 0x88
.LBB17_110:                             ; =>This Loop Header: Depth=1
                                        ;     Child Loop BB17_127 Depth 2
                                        ;       Child Loop BB17_131 Depth 3
	s_lshl_b32 s3, s4, 3
	s_mul_i32 s5, s4, 0x88
	v_cmp_ne_u32_e32 vcc_lo, 1, v11
	s_add_i32 s6, s5, s3
	s_delay_alu instid0(SALU_CYCLE_1)
	v_mov_b32_e32 v5, s6
	s_waitcnt lgkmcnt(0)
	ds_load_b64 v[7:8], v5
	s_cbranch_vccnz .LBB17_119
; %bb.111:                              ;   in Loop: Header=BB17_110 Depth=1
	s_waitcnt lgkmcnt(0)
	v_cmp_gt_f32_e32 vcc_lo, 0, v7
	v_cndmask_b32_e64 v5, v7, -v7, vcc_lo
	v_cmp_gt_f32_e32 vcc_lo, 0, v8
	v_cndmask_b32_e64 v6, v8, -v8, vcc_lo
	s_delay_alu instid0(VALU_DEP_1)
	v_cmp_ngt_f32_e32 vcc_lo, v5, v6
	s_cbranch_vccz .LBB17_135
; %bb.112:                              ;   in Loop: Header=BB17_110 Depth=1
	v_cmp_eq_f32_e32 vcc_lo, 0, v8
	v_mov_b32_e32 v9, 0
	s_mov_b32 s8, 0
	s_cbranch_vccnz .LBB17_114
; %bb.113:                              ;   in Loop: Header=BB17_110 Depth=1
	v_div_scale_f32 v9, null, v6, v6, v5
	v_div_scale_f32 v15, vcc_lo, v5, v6, v5
	s_delay_alu instid0(VALU_DEP_2) | instskip(SKIP_2) | instid1(VALU_DEP_1)
	v_rcp_f32_e32 v13, v9
	s_waitcnt_depctr 0xfff
	v_fma_f32 v14, -v9, v13, 1.0
	v_fmac_f32_e32 v13, v14, v13
	s_delay_alu instid0(VALU_DEP_1) | instskip(NEXT) | instid1(VALU_DEP_1)
	v_mul_f32_e32 v14, v15, v13
	v_fma_f32 v16, -v9, v14, v15
	s_delay_alu instid0(VALU_DEP_1) | instskip(NEXT) | instid1(VALU_DEP_1)
	v_fmac_f32_e32 v14, v16, v13
	v_fma_f32 v9, -v9, v14, v15
	s_delay_alu instid0(VALU_DEP_1) | instskip(NEXT) | instid1(VALU_DEP_1)
	v_div_fmas_f32 v9, v9, v13, v14
	v_div_fixup_f32 v9, v9, v6, v5
	s_delay_alu instid0(VALU_DEP_1) | instskip(NEXT) | instid1(VALU_DEP_1)
	v_fma_f32 v9, v9, v9, 1.0
	v_mul_f32_e32 v13, 0x4f800000, v9
	v_cmp_gt_f32_e32 vcc_lo, 0xf800000, v9
	s_delay_alu instid0(VALU_DEP_2) | instskip(NEXT) | instid1(VALU_DEP_1)
	v_cndmask_b32_e32 v9, v9, v13, vcc_lo
	v_sqrt_f32_e32 v13, v9
	s_waitcnt_depctr 0xfff
	v_add_nc_u32_e32 v14, -1, v13
	v_add_nc_u32_e32 v15, 1, v13
	s_delay_alu instid0(VALU_DEP_2) | instskip(NEXT) | instid1(VALU_DEP_2)
	v_fma_f32 v16, -v14, v13, v9
	v_fma_f32 v17, -v15, v13, v9
	s_delay_alu instid0(VALU_DEP_2) | instskip(NEXT) | instid1(VALU_DEP_1)
	v_cmp_ge_f32_e64 s3, 0, v16
	v_cndmask_b32_e64 v13, v13, v14, s3
	s_delay_alu instid0(VALU_DEP_3) | instskip(NEXT) | instid1(VALU_DEP_1)
	v_cmp_lt_f32_e64 s3, 0, v17
	v_cndmask_b32_e64 v13, v13, v15, s3
	s_delay_alu instid0(VALU_DEP_1) | instskip(NEXT) | instid1(VALU_DEP_1)
	v_mul_f32_e32 v14, 0x37800000, v13
	v_cndmask_b32_e32 v13, v13, v14, vcc_lo
	v_cmp_class_f32_e64 vcc_lo, v9, 0x260
	s_delay_alu instid0(VALU_DEP_2) | instskip(NEXT) | instid1(VALU_DEP_1)
	v_cndmask_b32_e32 v9, v13, v9, vcc_lo
	v_mul_f32_e32 v9, v6, v9
.LBB17_114:                             ;   in Loop: Header=BB17_110 Depth=1
	s_and_not1_b32 vcc_lo, exec_lo, s8
	s_cbranch_vccnz .LBB17_116
.LBB17_115:                             ;   in Loop: Header=BB17_110 Depth=1
	v_div_scale_f32 v9, null, v5, v5, v6
	v_div_scale_f32 v15, vcc_lo, v6, v5, v6
	s_delay_alu instid0(VALU_DEP_2) | instskip(SKIP_2) | instid1(VALU_DEP_1)
	v_rcp_f32_e32 v13, v9
	s_waitcnt_depctr 0xfff
	v_fma_f32 v14, -v9, v13, 1.0
	v_fmac_f32_e32 v13, v14, v13
	s_delay_alu instid0(VALU_DEP_1) | instskip(NEXT) | instid1(VALU_DEP_1)
	v_mul_f32_e32 v14, v15, v13
	v_fma_f32 v16, -v9, v14, v15
	s_delay_alu instid0(VALU_DEP_1) | instskip(NEXT) | instid1(VALU_DEP_1)
	v_fmac_f32_e32 v14, v16, v13
	v_fma_f32 v9, -v9, v14, v15
	s_delay_alu instid0(VALU_DEP_1) | instskip(NEXT) | instid1(VALU_DEP_1)
	v_div_fmas_f32 v9, v9, v13, v14
	v_div_fixup_f32 v6, v9, v5, v6
	s_delay_alu instid0(VALU_DEP_1) | instskip(NEXT) | instid1(VALU_DEP_1)
	v_fma_f32 v6, v6, v6, 1.0
	v_mul_f32_e32 v9, 0x4f800000, v6
	v_cmp_gt_f32_e32 vcc_lo, 0xf800000, v6
	s_delay_alu instid0(VALU_DEP_2) | instskip(NEXT) | instid1(VALU_DEP_1)
	v_cndmask_b32_e32 v6, v6, v9, vcc_lo
	v_sqrt_f32_e32 v9, v6
	s_waitcnt_depctr 0xfff
	v_add_nc_u32_e32 v13, -1, v9
	v_add_nc_u32_e32 v14, 1, v9
	s_delay_alu instid0(VALU_DEP_2) | instskip(NEXT) | instid1(VALU_DEP_2)
	v_fma_f32 v15, -v13, v9, v6
	v_fma_f32 v16, -v14, v9, v6
	s_delay_alu instid0(VALU_DEP_2) | instskip(NEXT) | instid1(VALU_DEP_1)
	v_cmp_ge_f32_e64 s3, 0, v15
	v_cndmask_b32_e64 v9, v9, v13, s3
	s_delay_alu instid0(VALU_DEP_3) | instskip(NEXT) | instid1(VALU_DEP_1)
	v_cmp_lt_f32_e64 s3, 0, v16
	v_cndmask_b32_e64 v9, v9, v14, s3
	s_delay_alu instid0(VALU_DEP_1) | instskip(NEXT) | instid1(VALU_DEP_1)
	v_mul_f32_e32 v13, 0x37800000, v9
	v_cndmask_b32_e32 v9, v9, v13, vcc_lo
	v_cmp_class_f32_e64 vcc_lo, v6, 0x260
	s_delay_alu instid0(VALU_DEP_2) | instskip(NEXT) | instid1(VALU_DEP_1)
	v_cndmask_b32_e32 v6, v9, v6, vcc_lo
	v_mul_f32_e32 v9, v5, v6
.LBB17_116:                             ;   in Loop: Header=BB17_110 Depth=1
	s_delay_alu instid0(VALU_DEP_1)
	v_cvt_f64_f32_e32 v[5:6], v9
	buffer_gl0_inv
	v_cmp_ge_f64_e32 vcc_lo, v[1:2], v[5:6]
	v_cndmask_b32_e64 v5, v7, s33, vcc_lo
	v_cndmask_b32_e64 v6, v8, s36, vcc_lo
	s_and_saveexec_b32 s3, s2
	s_cbranch_execz .LBB17_118
; %bb.117:                              ;   in Loop: Header=BB17_110 Depth=1
	v_mov_b32_e32 v9, s6
	ds_store_b64 v9, v[5:6]
.LBB17_118:                             ;   in Loop: Header=BB17_110 Depth=1
	s_or_b32 exec_lo, exec_lo, s3
	s_mov_b32 s3, -1
	s_mov_b32 s8, 0
	s_branch .LBB17_121
.LBB17_119:                             ;   in Loop: Header=BB17_110 Depth=1
	s_mov_b32 s3, 0
                                        ; implicit-def: $vgpr5
	s_mov_b32 s8, 0
	s_cbranch_execz .LBB17_121
; %bb.120:                              ;   in Loop: Header=BB17_110 Depth=1
	s_waitcnt lgkmcnt(0)
	v_cmp_neq_f32_e32 vcc_lo, 0, v7
	v_cmp_neq_f32_e64 s3, 0, v8
	v_dual_mov_b32 v5, v7 :: v_dual_mov_b32 v6, v8
	s_mov_b32 s8, -1
	s_delay_alu instid0(VALU_DEP_2)
	s_or_b32 s3, vcc_lo, s3
.LBB17_121:                             ;   in Loop: Header=BB17_110 Depth=1
	s_delay_alu instid0(SALU_CYCLE_1)
	s_and_not1_b32 vcc_lo, exec_lo, s3
                                        ; implicit-def: $sgpr6
	s_cbranch_vccz .LBB17_124
; %bb.122:                              ;   in Loop: Header=BB17_110 Depth=1
	s_and_not1_b32 vcc_lo, exec_lo, s8
	s_cbranch_vccz .LBB17_133
.LBB17_123:                             ;   in Loop: Header=BB17_110 Depth=1
	s_cmp_eq_u32 s6, s23
	s_cbranch_scc0 .LBB17_134
	s_branch .LBB17_136
.LBB17_124:                             ;   in Loop: Header=BB17_110 Depth=1
	s_add_i32 s6, s4, 1
	s_mov_b32 s8, exec_lo
	v_add_nc_u32_e32 v13, s6, v3
	s_delay_alu instid0(VALU_DEP_1)
	v_cmpx_gt_i32_e64 s23, v13
	s_cbranch_execz .LBB17_132
; %bb.125:                              ;   in Loop: Header=BB17_110 Depth=1
	v_mul_f32_e32 v9, v6, v6
	s_mov_b32 s9, 0
	s_delay_alu instid0(VALU_DEP_1) | instskip(SKIP_1) | instid1(VALU_DEP_1)
	v_fmac_f32_e32 v9, v5, v5
	s_waitcnt lgkmcnt(0)
	v_div_scale_f32 v7, null, v9, v9, 1.0
	s_delay_alu instid0(VALU_DEP_1) | instskip(SKIP_2) | instid1(VALU_DEP_1)
	v_rcp_f32_e32 v8, v7
	s_waitcnt_depctr 0xfff
	v_fma_f32 v14, -v7, v8, 1.0
	v_fmac_f32_e32 v8, v14, v8
	v_div_scale_f32 v15, vcc_lo, 1.0, v9, 1.0
	s_delay_alu instid0(VALU_DEP_1) | instskip(NEXT) | instid1(VALU_DEP_1)
	v_mul_f32_e32 v16, v15, v8
	v_fma_f32 v14, -v7, v16, v15
	s_delay_alu instid0(VALU_DEP_1) | instskip(SKIP_1) | instid1(VALU_DEP_2)
	v_fmac_f32_e32 v16, v14, v8
	v_add_nc_u32_e32 v14, s6, v12
	v_fma_f32 v7, -v7, v16, v15
	s_delay_alu instid0(VALU_DEP_1) | instskip(SKIP_1) | instid1(VALU_DEP_4)
	v_div_fmas_f32 v15, v7, v8, v16
	v_mad_u64_u32 v[7:8], null, 0x90, s4, v[4:5]
	v_cmp_gt_i32_e32 vcc_lo, s23, v14
	v_mov_b32_e32 v16, v10
	s_delay_alu instid0(VALU_DEP_4)
	v_div_fixup_f32 v15, v15, v9, 1.0
	s_branch .LBB17_127
.LBB17_126:                             ;   in Loop: Header=BB17_127 Depth=2
	s_or_b32 exec_lo, exec_lo, s10
	v_add_nc_u32_e32 v13, 16, v13
	v_add_nc_u32_e32 v16, 0x80, v16
	s_delay_alu instid0(VALU_DEP_2) | instskip(NEXT) | instid1(VALU_DEP_1)
	v_cmp_le_i32_e64 s3, s23, v13
	s_or_b32 s9, s3, s9
	s_delay_alu instid0(SALU_CYCLE_1)
	s_and_not1_b32 exec_lo, exec_lo, s9
	s_cbranch_execz .LBB17_132
.LBB17_127:                             ;   Parent Loop BB17_110 Depth=1
                                        ; =>  This Loop Header: Depth=2
                                        ;       Child Loop BB17_131 Depth 3
	v_lshl_add_u32 v17, v13, 3, s5
	ds_load_b64 v[8:9], v17
	s_waitcnt lgkmcnt(0)
	buffer_gl0_inv
	v_mul_f32_e64 v19, v6, -v8
	s_delay_alu instid0(VALU_DEP_1) | instskip(NEXT) | instid1(VALU_DEP_1)
	v_fmac_f32_e32 v19, v9, v5
	v_dual_mul_f32 v18, v6, v9 :: v_dual_mul_f32 v9, v15, v19
	s_delay_alu instid0(VALU_DEP_1) | instskip(NEXT) | instid1(VALU_DEP_1)
	v_fmac_f32_e32 v18, v8, v5
	v_mul_f32_e32 v8, v15, v18
	s_and_saveexec_b32 s3, s1
	s_cbranch_execz .LBB17_129
; %bb.128:                              ;   in Loop: Header=BB17_127 Depth=2
	ds_store_b64 v17, v[8:9]
.LBB17_129:                             ;   in Loop: Header=BB17_127 Depth=2
	s_or_b32 exec_lo, exec_lo, s3
	s_and_saveexec_b32 s10, vcc_lo
	s_cbranch_execz .LBB17_126
; %bb.130:                              ;   in Loop: Header=BB17_127 Depth=2
	v_dual_mov_b32 v17, v7 :: v_dual_mov_b32 v18, v14
	s_mov_b32 s11, 0
	.p2align	6
.LBB17_131:                             ;   Parent Loop BB17_110 Depth=1
                                        ;     Parent Loop BB17_127 Depth=2
                                        ; =>    This Inner Loop Header: Depth=3
	s_delay_alu instid0(VALU_DEP_1)
	v_add_nc_u32_e32 v23, v17, v16
	ds_load_b64 v[19:20], v17
	ds_load_b64 v[21:22], v23 offset:8
	v_add_nc_u32_e32 v17, 0x220, v17
	s_waitcnt lgkmcnt(0)
	v_fma_f32 v21, -v8, v19, v21
	v_add_nc_u32_e32 v18, 4, v18
	v_fma_f32 v19, -v9, v19, v22
	s_delay_alu instid0(VALU_DEP_3) | instskip(NEXT) | instid1(VALU_DEP_3)
	v_fmac_f32_e32 v21, v9, v20
	v_cmp_le_i32_e64 s3, s23, v18
	s_delay_alu instid0(VALU_DEP_3) | instskip(NEXT) | instid1(VALU_DEP_2)
	v_fma_f32 v22, -v8, v20, v19
	s_or_b32 s11, s3, s11
	ds_store_b64 v23, v[21:22] offset:8
	s_and_not1_b32 exec_lo, exec_lo, s11
	s_cbranch_execnz .LBB17_131
	s_branch .LBB17_126
.LBB17_132:                             ;   in Loop: Header=BB17_110 Depth=1
	s_or_b32 exec_lo, exec_lo, s8
	s_cbranch_execnz .LBB17_123
.LBB17_133:                             ;   in Loop: Header=BB17_110 Depth=1
	s_add_i32 s6, s4, 1
	s_mov_b32 s7, -1
	s_cmp_eq_u32 s6, s23
	s_cbranch_scc1 .LBB17_136
.LBB17_134:                             ;   in Loop: Header=BB17_110 Depth=1
	s_mov_b32 s4, s6
	s_branch .LBB17_110
.LBB17_135:                             ;   in Loop: Header=BB17_110 Depth=1
                                        ; implicit-def: $vgpr9
	s_branch .LBB17_115
.LBB17_136:
	s_waitcnt lgkmcnt(0)
	buffer_gl0_inv
	s_and_saveexec_b32 s2, s0
	s_cbranch_execz .LBB17_146
; %bb.137:
	s_mul_i32 s3, s28, s23
	v_bfe_u32 v4, v0, 10, 10
	v_add_nc_u32_e32 v1, s3, v3
	s_cmp_lg_u32 s30, 0
	s_mov_b32 s4, 0
	s_cselect_b32 s5, -1, 0
	v_cmp_gt_u32_e64 s0, s23, v4
	v_mul_lo_u32 v5, s23, v1
	v_mad_u32_u24 v6, 0x88, v4, v10
	s_lshl_b32 s6, s23, 4
	s_set_inst_prefetch_distance 0x1
	s_branch .LBB17_139
	.p2align	6
.LBB17_138:                             ;   in Loop: Header=BB17_139 Depth=1
	s_or_b32 exec_lo, exec_lo, s8
	v_add_nc_u32_e32 v3, 16, v3
	v_add_nc_u32_e32 v5, s6, v5
	;; [unrolled: 1-line block ×3, first 2 shown]
	s_delay_alu instid0(VALU_DEP_3) | instskip(SKIP_1) | instid1(SALU_CYCLE_1)
	v_cmp_le_i32_e32 vcc_lo, s23, v3
	s_or_b32 s4, vcc_lo, s4
	s_and_not1_b32 exec_lo, exec_lo, s4
	s_cbranch_execz .LBB17_146
.LBB17_139:                             ; =>This Loop Header: Depth=1
                                        ;     Child Loop BB17_142 Depth 2
	s_and_saveexec_b32 s8, s0
	s_cbranch_execz .LBB17_138
; %bb.140:                              ;   in Loop: Header=BB17_139 Depth=1
	v_dual_mov_b32 v7, v6 :: v_dual_mov_b32 v8, v4
	s_mov_b32 s9, 0
	s_branch .LBB17_142
	.p2align	6
.LBB17_141:                             ;   in Loop: Header=BB17_142 Depth=2
	ds_load_b64 v[9:10], v7
	v_ashrrev_i32_e32 v2, 31, v1
	v_add_nc_u32_e32 v8, 4, v8
	v_add_nc_u32_e32 v7, 0x220, v7
	s_delay_alu instid0(VALU_DEP_3) | instskip(NEXT) | instid1(VALU_DEP_3)
	v_lshlrev_b64 v[1:2], 3, v[1:2]
	v_cmp_le_i32_e32 vcc_lo, s23, v8
	s_or_b32 s9, vcc_lo, s9
	s_delay_alu instid0(VALU_DEP_2) | instskip(NEXT) | instid1(VALU_DEP_1)
	v_add_co_u32 v1, s1, s12, v1
	v_add_co_ci_u32_e64 v2, s1, s13, v2, s1
	s_waitcnt lgkmcnt(0)
	global_store_b64 v[1:2], v[9:10], off
	s_and_not1_b32 exec_lo, exec_lo, s9
	s_cbranch_execz .LBB17_138
.LBB17_142:                             ;   Parent Loop BB17_139 Depth=1
                                        ; =>  This Inner Loop Header: Depth=2
	s_and_b32 vcc_lo, exec_lo, s5
	s_cbranch_vccz .LBB17_144
; %bb.143:                              ;   in Loop: Header=BB17_142 Depth=2
	v_add_nc_u32_e32 v9, s3, v8
	s_delay_alu instid0(VALU_DEP_1)
	v_mad_u64_u32 v[1:2], null, v9, s23, v[3:4]
	s_cbranch_execnz .LBB17_141
	s_branch .LBB17_145
	.p2align	6
.LBB17_144:                             ;   in Loop: Header=BB17_142 Depth=2
                                        ; implicit-def: $vgpr1
.LBB17_145:                             ;   in Loop: Header=BB17_142 Depth=2
	v_add_nc_u32_e32 v1, v5, v8
	s_branch .LBB17_141
.LBB17_146:
	s_set_inst_prefetch_distance 0x2
	s_or_b32 exec_lo, exec_lo, s2
.LBB17_147:
	s_add_i32 s3, s28, 1
	s_delay_alu instid0(SALU_CYCLE_1)
	s_cmp_ge_i32 s3, s25
	s_cbranch_scc1 .LBB17_180
; %bb.148:
	v_and_b32_e32 v1, 0x3ff, v0
	v_bfe_u32 v5, v0, 10, 10
	s_cmp_lg_u32 s30, 0
	s_mul_i32 s6, s23, s23
	s_cselect_b32 s4, -1, 0
	v_mad_u64_u32 v[2:3], null, s23, s3, v[1:2]
	v_mul_u32_u24_e32 v3, 0x88, v5
	v_lshlrev_b32_e32 v4, 3, v1
	v_mul_u32_u24_e32 v9, 0x88, v1
	v_lshlrev_b32_e32 v10, 3, v5
	s_cmp_gt_i32 s23, 0
	v_cmp_gt_i32_e64 s0, s23, v1
	v_cmp_gt_i32_e64 s1, s23, v5
	v_add_nc_u32_e32 v6, 1, v5
	v_mul_lo_u32 v7, s23, v2
	v_add3_u32 v8, v3, v4, 0x880
	v_add3_u32 v9, v10, v9, 0x888
	v_add_nc_u32_e32 v10, 8, v10
	s_cselect_b32 s5, -1, 0
	s_lshl_b32 s8, s23, 4
.LBB17_149:                             ; =>This Loop Header: Depth=1
                                        ;     Child Loop BB17_152 Depth 2
                                        ;       Child Loop BB17_155 Depth 3
                                        ;     Child Loop BB17_162 Depth 2
                                        ;       Child Loop BB17_165 Depth 3
                                        ;         Child Loop BB17_167 Depth 4
                                        ;     Child Loop BB17_171 Depth 2
                                        ;       Child Loop BB17_174 Depth 3
	s_mul_i32 s9, s3, s23
	s_waitcnt lgkmcnt(0)
	s_waitcnt_vscnt null, 0x0
	buffer_gl0_inv
	s_and_saveexec_b32 s2, s0
	s_cbranch_execz .LBB17_159
; %bb.150:                              ;   in Loop: Header=BB17_149 Depth=1
	v_dual_mov_b32 v11, v8 :: v_dual_mov_b32 v12, v7
	v_mov_b32_e32 v2, v1
	s_mov_b32 s10, 0
	s_set_inst_prefetch_distance 0x1
	s_branch .LBB17_152
	.p2align	6
.LBB17_151:                             ;   in Loop: Header=BB17_152 Depth=2
	s_or_b32 exec_lo, exec_lo, s11
	v_add_nc_u32_e32 v2, 16, v2
	v_add_nc_u32_e32 v12, s8, v12
	;; [unrolled: 1-line block ×3, first 2 shown]
	s_delay_alu instid0(VALU_DEP_3) | instskip(SKIP_1) | instid1(SALU_CYCLE_1)
	v_cmp_le_i32_e32 vcc_lo, s23, v2
	s_or_b32 s10, vcc_lo, s10
	s_and_not1_b32 exec_lo, exec_lo, s10
	s_cbranch_execz .LBB17_159
.LBB17_152:                             ;   Parent Loop BB17_149 Depth=1
                                        ; =>  This Loop Header: Depth=2
                                        ;       Child Loop BB17_155 Depth 3
	s_and_saveexec_b32 s11, s1
	s_cbranch_execz .LBB17_151
; %bb.153:                              ;   in Loop: Header=BB17_152 Depth=2
	v_dual_mov_b32 v13, v11 :: v_dual_mov_b32 v14, v5
	s_mov_b32 s14, 0
	s_branch .LBB17_155
	.p2align	6
.LBB17_154:                             ;   in Loop: Header=BB17_155 Depth=3
	s_delay_alu instid0(VALU_DEP_1) | instskip(SKIP_1) | instid1(VALU_DEP_2)
	v_ashrrev_i32_e32 v4, 31, v3
	v_add_nc_u32_e32 v14, 4, v14
	v_lshlrev_b64 v[3:4], 3, v[3:4]
	s_delay_alu instid0(VALU_DEP_1) | instskip(NEXT) | instid1(VALU_DEP_2)
	v_add_co_u32 v3, vcc_lo, s12, v3
	v_add_co_ci_u32_e32 v4, vcc_lo, s13, v4, vcc_lo
	s_delay_alu instid0(VALU_DEP_4)
	v_cmp_le_i32_e32 vcc_lo, s23, v14
	global_load_b64 v[3:4], v[3:4], off
	s_or_b32 s14, vcc_lo, s14
	s_waitcnt vmcnt(0)
	ds_store_b64 v13, v[3:4]
	v_add_nc_u32_e32 v13, 0x220, v13
	s_and_not1_b32 exec_lo, exec_lo, s14
	s_cbranch_execz .LBB17_151
.LBB17_155:                             ;   Parent Loop BB17_149 Depth=1
                                        ;     Parent Loop BB17_152 Depth=2
                                        ; =>    This Inner Loop Header: Depth=3
	s_and_b32 vcc_lo, exec_lo, s4
	s_cbranch_vccz .LBB17_157
; %bb.156:                              ;   in Loop: Header=BB17_155 Depth=3
	v_add_nc_u32_e32 v15, s9, v14
	s_delay_alu instid0(VALU_DEP_1)
	v_mad_u64_u32 v[3:4], null, v15, s23, v[2:3]
	s_cbranch_execnz .LBB17_154
	s_branch .LBB17_158
	.p2align	6
.LBB17_157:                             ;   in Loop: Header=BB17_155 Depth=3
                                        ; implicit-def: $vgpr3
.LBB17_158:                             ;   in Loop: Header=BB17_155 Depth=3
	v_add_nc_u32_e32 v3, v12, v14
	s_branch .LBB17_154
.LBB17_159:                             ;   in Loop: Header=BB17_149 Depth=1
	s_set_inst_prefetch_distance 0x2
	s_or_b32 exec_lo, exec_lo, s2
	s_delay_alu instid0(SALU_CYCLE_1)
	s_and_not1_b32 vcc_lo, exec_lo, s5
	s_waitcnt lgkmcnt(0)
	buffer_gl0_inv
	s_cbranch_vccnz .LBB17_168
; %bb.160:                              ;   in Loop: Header=BB17_149 Depth=1
	v_dual_mov_b32 v2, v10 :: v_dual_mov_b32 v3, v9
	s_mov_b32 s10, 0
	s_branch .LBB17_162
.LBB17_161:                             ;   in Loop: Header=BB17_162 Depth=2
	s_set_inst_prefetch_distance 0x2
	s_or_b32 exec_lo, exec_lo, s11
	v_add_nc_u32_e32 v3, 8, v3
	v_add_nc_u32_e32 v2, 0x90, v2
	s_add_i32 s10, s10, 1
	s_delay_alu instid0(SALU_CYCLE_1)
	s_cmp_eq_u32 s10, s23
	s_cbranch_scc1 .LBB17_168
.LBB17_162:                             ;   Parent Loop BB17_149 Depth=1
                                        ; =>  This Loop Header: Depth=2
                                        ;       Child Loop BB17_165 Depth 3
                                        ;         Child Loop BB17_167 Depth 4
	s_and_saveexec_b32 s11, s0
	s_cbranch_execz .LBB17_161
; %bb.163:                              ;   in Loop: Header=BB17_162 Depth=2
	v_dual_mov_b32 v11, v3 :: v_dual_add_nc_u32 v4, s10, v6
	v_mov_b32_e32 v12, v1
	s_mov_b32 s14, 0
	s_lshl_b32 s15, s10, 3
	s_delay_alu instid0(VALU_DEP_2)
	v_cmp_gt_i32_e32 vcc_lo, s23, v4
	s_set_inst_prefetch_distance 0x1
	s_branch .LBB17_165
	.p2align	6
.LBB17_164:                             ;   in Loop: Header=BB17_165 Depth=3
	s_or_b32 exec_lo, exec_lo, s16
	v_add_nc_u32_e32 v12, 16, v12
	v_add_nc_u32_e32 v11, 0x880, v11
	s_delay_alu instid0(VALU_DEP_2) | instskip(NEXT) | instid1(VALU_DEP_1)
	v_cmp_le_i32_e64 s2, s23, v12
	s_or_b32 s14, s2, s14
	s_delay_alu instid0(SALU_CYCLE_1)
	s_and_not1_b32 exec_lo, exec_lo, s14
	s_cbranch_execz .LBB17_161
.LBB17_165:                             ;   Parent Loop BB17_149 Depth=1
                                        ;     Parent Loop BB17_162 Depth=2
                                        ; =>    This Loop Header: Depth=3
                                        ;         Child Loop BB17_167 Depth 4
	s_and_saveexec_b32 s16, vcc_lo
	s_cbranch_execz .LBB17_164
; %bb.166:                              ;   in Loop: Header=BB17_165 Depth=3
	v_mul_lo_u32 v15, 0x88, v12
	v_dual_mov_b32 v13, v2 :: v_dual_mov_b32 v14, v11
	v_mov_b32_e32 v16, v4
	s_mov_b32 s17, 0
	s_delay_alu instid0(VALU_DEP_3)
	v_add3_u32 v15, 0x880, s15, v15
	.p2align	6
.LBB17_167:                             ;   Parent Loop BB17_149 Depth=1
                                        ;     Parent Loop BB17_162 Depth=2
                                        ;       Parent Loop BB17_165 Depth=3
                                        ; =>      This Inner Loop Header: Depth=4
	ds_load_b64 v[17:18], v13
	ds_load_b64 v[19:20], v15
	;; [unrolled: 1-line block ×3, first 2 shown]
	v_add_nc_u32_e32 v16, 4, v16
	v_add_nc_u32_e32 v13, 32, v13
	s_delay_alu instid0(VALU_DEP_2) | instskip(NEXT) | instid1(VALU_DEP_1)
	v_cmp_le_i32_e64 s2, s23, v16
	s_or_b32 s17, s2, s17
	s_waitcnt lgkmcnt(0)
	v_fma_f32 v21, -v17, v19, v21
	v_fma_f32 v19, -v18, v19, v22
	s_delay_alu instid0(VALU_DEP_2) | instskip(NEXT) | instid1(VALU_DEP_2)
	v_fmac_f32_e32 v21, v18, v20
	v_fma_f32 v22, -v17, v20, v19
	ds_store_b64 v14, v[21:22]
	v_add_nc_u32_e32 v14, 32, v14
	s_and_not1_b32 exec_lo, exec_lo, s17
	s_cbranch_execnz .LBB17_167
	s_branch .LBB17_164
.LBB17_168:                             ;   in Loop: Header=BB17_149 Depth=1
	s_waitcnt lgkmcnt(0)
	buffer_gl0_inv
	s_and_saveexec_b32 s10, s0
	s_cbranch_execz .LBB17_178
; %bb.169:                              ;   in Loop: Header=BB17_149 Depth=1
	v_dual_mov_b32 v11, v8 :: v_dual_mov_b32 v12, v7
	v_mov_b32_e32 v2, v1
	s_mov_b32 s11, 0
	s_set_inst_prefetch_distance 0x1
	s_branch .LBB17_171
	.p2align	6
.LBB17_170:                             ;   in Loop: Header=BB17_171 Depth=2
	s_or_b32 exec_lo, exec_lo, s14
	v_add_nc_u32_e32 v2, 16, v2
	v_add_nc_u32_e32 v12, s8, v12
	;; [unrolled: 1-line block ×3, first 2 shown]
	s_delay_alu instid0(VALU_DEP_3) | instskip(SKIP_1) | instid1(SALU_CYCLE_1)
	v_cmp_le_i32_e32 vcc_lo, s23, v2
	s_or_b32 s11, vcc_lo, s11
	s_and_not1_b32 exec_lo, exec_lo, s11
	s_cbranch_execz .LBB17_178
.LBB17_171:                             ;   Parent Loop BB17_149 Depth=1
                                        ; =>  This Loop Header: Depth=2
                                        ;       Child Loop BB17_174 Depth 3
	s_and_saveexec_b32 s14, s1
	s_cbranch_execz .LBB17_170
; %bb.172:                              ;   in Loop: Header=BB17_171 Depth=2
	v_dual_mov_b32 v13, v11 :: v_dual_mov_b32 v14, v5
	s_mov_b32 s15, 0
	s_branch .LBB17_174
	.p2align	6
.LBB17_173:                             ;   in Loop: Header=BB17_174 Depth=3
	ds_load_b64 v[15:16], v13
	v_ashrrev_i32_e32 v4, 31, v3
	v_add_nc_u32_e32 v14, 4, v14
	v_add_nc_u32_e32 v13, 0x220, v13
	s_delay_alu instid0(VALU_DEP_3) | instskip(NEXT) | instid1(VALU_DEP_3)
	v_lshlrev_b64 v[3:4], 3, v[3:4]
	v_cmp_le_i32_e32 vcc_lo, s23, v14
	s_or_b32 s15, vcc_lo, s15
	s_delay_alu instid0(VALU_DEP_2) | instskip(NEXT) | instid1(VALU_DEP_1)
	v_add_co_u32 v3, s2, s12, v3
	v_add_co_ci_u32_e64 v4, s2, s13, v4, s2
	s_waitcnt lgkmcnt(0)
	global_store_b64 v[3:4], v[15:16], off
	s_and_not1_b32 exec_lo, exec_lo, s15
	s_cbranch_execz .LBB17_170
.LBB17_174:                             ;   Parent Loop BB17_149 Depth=1
                                        ;     Parent Loop BB17_171 Depth=2
                                        ; =>    This Inner Loop Header: Depth=3
	s_and_b32 vcc_lo, exec_lo, s4
	s_cbranch_vccz .LBB17_176
; %bb.175:                              ;   in Loop: Header=BB17_174 Depth=3
	v_add_nc_u32_e32 v15, s9, v14
	s_delay_alu instid0(VALU_DEP_1)
	v_mad_u64_u32 v[3:4], null, v15, s23, v[2:3]
	s_cbranch_execnz .LBB17_173
	s_branch .LBB17_177
	.p2align	6
.LBB17_176:                             ;   in Loop: Header=BB17_174 Depth=3
                                        ; implicit-def: $vgpr3
.LBB17_177:                             ;   in Loop: Header=BB17_174 Depth=3
	v_add_nc_u32_e32 v3, v12, v14
	s_branch .LBB17_173
.LBB17_178:                             ;   in Loop: Header=BB17_149 Depth=1
	s_set_inst_prefetch_distance 0x2
	s_or_b32 exec_lo, exec_lo, s10
; %bb.179:                              ;   in Loop: Header=BB17_149 Depth=1
	v_add_nc_u32_e32 v7, s6, v7
	s_add_i32 s3, s3, 1
	s_delay_alu instid0(SALU_CYCLE_1)
	s_cmp_ge_i32 s3, s25
	s_cbranch_scc0 .LBB17_149
.LBB17_180:
	s_waitcnt vmcnt(0)
	v_and_b32_e32 v1, 0x3ff, v0
	v_bfe_u32 v0, v0, 10, 10
	s_mov_b32 s0, exec_lo
	s_delay_alu instid0(VALU_DEP_1) | instskip(NEXT) | instid1(VALU_DEP_1)
	v_or_b32_e32 v0, v1, v0
	v_cmpx_eq_u32_e32 0, v0
	s_cbranch_execz .LBB17_184
; %bb.181:
	v_dual_mov_b32 v0, 0 :: v_dual_mov_b32 v1, 1
	s_add_u32 s0, s20, s26
	s_addc_u32 s1, s21, s27
	s_and_not1_b32 vcc_lo, exec_lo, s7
	s_waitcnt_vscnt null, 0x0
	global_store_b32 v0, v1, s[0:1]
	s_cbranch_vccnz .LBB17_184
; %bb.182:
	v_mbcnt_lo_u32_b32 v0, exec_lo, 0
	s_delay_alu instid0(VALU_DEP_1)
	v_cmp_eq_u32_e32 vcc_lo, 0, v0
	s_and_b32 exec_lo, exec_lo, vcc_lo
	s_cbranch_execz .LBB17_184
; %bb.183:
	s_add_i32 s0, s22, s24
	s_delay_alu instid0(SALU_CYCLE_1)
	v_dual_mov_b32 v0, 0 :: v_dual_mov_b32 v1, s0
	global_atomic_min_i32 v0, v1, s[18:19]
.LBB17_184:
	s_nop 0
	s_sendmsg sendmsg(MSG_DEALLOC_VGPRS)
	s_endpgm
	.section	.rodata,"a",@progbits
	.p2align	6, 0x0
	.amdhsa_kernel _ZN9rocsparseL12bsrilu0_9_32ILj64ELj64ELj16E21rocsparse_complex_numIfEEEv20rocsparse_direction_iPKiS5_PT2_S5_iPiS5_S8_21rocsparse_index_base_imNS_24const_host_device_scalarIfEENSA_IdEENSA_IS6_EEb
		.amdhsa_group_segment_fixed_size 4352
		.amdhsa_private_segment_fixed_size 0
		.amdhsa_kernarg_size 116
		.amdhsa_user_sgpr_count 15
		.amdhsa_user_sgpr_dispatch_ptr 0
		.amdhsa_user_sgpr_queue_ptr 0
		.amdhsa_user_sgpr_kernarg_segment_ptr 1
		.amdhsa_user_sgpr_dispatch_id 0
		.amdhsa_user_sgpr_private_segment_size 0
		.amdhsa_wavefront_size32 1
		.amdhsa_uses_dynamic_stack 0
		.amdhsa_enable_private_segment 0
		.amdhsa_system_sgpr_workgroup_id_x 1
		.amdhsa_system_sgpr_workgroup_id_y 0
		.amdhsa_system_sgpr_workgroup_id_z 0
		.amdhsa_system_sgpr_workgroup_info 0
		.amdhsa_system_vgpr_workitem_id 1
		.amdhsa_next_free_vgpr 36
		.amdhsa_next_free_sgpr 49
		.amdhsa_reserve_vcc 1
		.amdhsa_float_round_mode_32 0
		.amdhsa_float_round_mode_16_64 0
		.amdhsa_float_denorm_mode_32 3
		.amdhsa_float_denorm_mode_16_64 3
		.amdhsa_dx10_clamp 1
		.amdhsa_ieee_mode 1
		.amdhsa_fp16_overflow 0
		.amdhsa_workgroup_processor_mode 1
		.amdhsa_memory_ordered 1
		.amdhsa_forward_progress 0
		.amdhsa_shared_vgpr_count 0
		.amdhsa_exception_fp_ieee_invalid_op 0
		.amdhsa_exception_fp_denorm_src 0
		.amdhsa_exception_fp_ieee_div_zero 0
		.amdhsa_exception_fp_ieee_overflow 0
		.amdhsa_exception_fp_ieee_underflow 0
		.amdhsa_exception_fp_ieee_inexact 0
		.amdhsa_exception_int_div_zero 0
	.end_amdhsa_kernel
	.section	.text._ZN9rocsparseL12bsrilu0_9_32ILj64ELj64ELj16E21rocsparse_complex_numIfEEEv20rocsparse_direction_iPKiS5_PT2_S5_iPiS5_S8_21rocsparse_index_base_imNS_24const_host_device_scalarIfEENSA_IdEENSA_IS6_EEb,"axG",@progbits,_ZN9rocsparseL12bsrilu0_9_32ILj64ELj64ELj16E21rocsparse_complex_numIfEEEv20rocsparse_direction_iPKiS5_PT2_S5_iPiS5_S8_21rocsparse_index_base_imNS_24const_host_device_scalarIfEENSA_IdEENSA_IS6_EEb,comdat
.Lfunc_end17:
	.size	_ZN9rocsparseL12bsrilu0_9_32ILj64ELj64ELj16E21rocsparse_complex_numIfEEEv20rocsparse_direction_iPKiS5_PT2_S5_iPiS5_S8_21rocsparse_index_base_imNS_24const_host_device_scalarIfEENSA_IdEENSA_IS6_EEb, .Lfunc_end17-_ZN9rocsparseL12bsrilu0_9_32ILj64ELj64ELj16E21rocsparse_complex_numIfEEEv20rocsparse_direction_iPKiS5_PT2_S5_iPiS5_S8_21rocsparse_index_base_imNS_24const_host_device_scalarIfEENSA_IdEENSA_IS6_EEb
                                        ; -- End function
	.section	.AMDGPU.csdata,"",@progbits
; Kernel info:
; codeLenInByte = 6104
; NumSgprs: 51
; NumVgprs: 36
; ScratchSize: 0
; MemoryBound: 0
; FloatMode: 240
; IeeeMode: 1
; LDSByteSize: 4352 bytes/workgroup (compile time only)
; SGPRBlocks: 6
; VGPRBlocks: 4
; NumSGPRsForWavesPerEU: 51
; NumVGPRsForWavesPerEU: 36
; Occupancy: 15
; WaveLimiterHint : 1
; COMPUTE_PGM_RSRC2:SCRATCH_EN: 0
; COMPUTE_PGM_RSRC2:USER_SGPR: 15
; COMPUTE_PGM_RSRC2:TRAP_HANDLER: 0
; COMPUTE_PGM_RSRC2:TGID_X_EN: 1
; COMPUTE_PGM_RSRC2:TGID_Y_EN: 0
; COMPUTE_PGM_RSRC2:TGID_Z_EN: 0
; COMPUTE_PGM_RSRC2:TIDIG_COMP_CNT: 1
	.section	.text._ZN9rocsparseL12bsrilu0_9_32ILj64ELj64ELj32E21rocsparse_complex_numIfEEEv20rocsparse_direction_iPKiS5_PT2_S5_iPiS5_S8_21rocsparse_index_base_imNS_24const_host_device_scalarIfEENSA_IdEENSA_IS6_EEb,"axG",@progbits,_ZN9rocsparseL12bsrilu0_9_32ILj64ELj64ELj32E21rocsparse_complex_numIfEEEv20rocsparse_direction_iPKiS5_PT2_S5_iPiS5_S8_21rocsparse_index_base_imNS_24const_host_device_scalarIfEENSA_IdEENSA_IS6_EEb,comdat
	.globl	_ZN9rocsparseL12bsrilu0_9_32ILj64ELj64ELj32E21rocsparse_complex_numIfEEEv20rocsparse_direction_iPKiS5_PT2_S5_iPiS5_S8_21rocsparse_index_base_imNS_24const_host_device_scalarIfEENSA_IdEENSA_IS6_EEb ; -- Begin function _ZN9rocsparseL12bsrilu0_9_32ILj64ELj64ELj32E21rocsparse_complex_numIfEEEv20rocsparse_direction_iPKiS5_PT2_S5_iPiS5_S8_21rocsparse_index_base_imNS_24const_host_device_scalarIfEENSA_IdEENSA_IS6_EEb
	.p2align	8
	.type	_ZN9rocsparseL12bsrilu0_9_32ILj64ELj64ELj32E21rocsparse_complex_numIfEEEv20rocsparse_direction_iPKiS5_PT2_S5_iPiS5_S8_21rocsparse_index_base_imNS_24const_host_device_scalarIfEENSA_IdEENSA_IS6_EEb,@function
_ZN9rocsparseL12bsrilu0_9_32ILj64ELj64ELj32E21rocsparse_complex_numIfEEEv20rocsparse_direction_iPKiS5_PT2_S5_iPiS5_S8_21rocsparse_index_base_imNS_24const_host_device_scalarIfEENSA_IdEENSA_IS6_EEb: ; @_ZN9rocsparseL12bsrilu0_9_32ILj64ELj64ELj32E21rocsparse_complex_numIfEEEv20rocsparse_direction_iPKiS5_PT2_S5_iPiS5_S8_21rocsparse_index_base_imNS_24const_host_device_scalarIfEENSA_IdEENSA_IS6_EEb
; %bb.0:
	s_clause 0x2
	s_load_b32 s2, s[0:1], 0x70
	s_load_b64 s[24:25], s[0:1], 0x48
	s_load_b256 s[16:23], s[0:1], 0x50
	s_mov_b32 s6, s15
	s_waitcnt lgkmcnt(0)
	s_bitcmp1_b32 s2, 0
	s_cselect_b32 s4, -1, 0
	s_cmp_lg_u32 s25, 0
	s_cselect_b32 s5, -1, 0
	s_cmp_eq_u32 s25, 0
	s_cselect_b32 s8, -1, 0
	s_delay_alu instid0(SALU_CYCLE_1) | instskip(SKIP_3) | instid1(SALU_CYCLE_1)
	s_and_b32 s2, s8, exec_lo
	s_cselect_b32 s2, 0, s20
	s_cselect_b32 s3, 0, s21
	s_or_b32 s7, s8, s4
	s_and_b32 vcc_lo, exec_lo, s7
	s_xor_b32 s7, s7, -1
	s_cbranch_vccnz .LBB18_2
; %bb.1:
	s_load_b32 s2, s[18:19], 0x0
	s_waitcnt lgkmcnt(0)
	v_mov_b32_e32 v12, s2
	s_mov_b64 s[2:3], s[20:21]
	s_delay_alu instid0(SALU_CYCLE_1)
	v_dual_mov_b32 v1, s2 :: v_dual_mov_b32 v2, s3
	s_and_not1_b32 vcc_lo, exec_lo, s7
	s_cbranch_vccz .LBB18_3
	s_branch .LBB18_4
.LBB18_2:
	v_cndmask_b32_e64 v12, s18, 0, s8
	v_dual_mov_b32 v1, s2 :: v_dual_mov_b32 v2, s3
	s_and_not1_b32 vcc_lo, exec_lo, s7
	s_cbranch_vccnz .LBB18_4
.LBB18_3:
	v_dual_mov_b32 v1, s20 :: v_dual_mov_b32 v2, s21
	flat_load_b64 v[1:2], v[1:2]
.LBB18_4:
	v_cndmask_b32_e64 v11, 0, 1, s5
	s_mov_b32 s36, 0
	s_and_not1_b32 vcc_lo, exec_lo, s5
	s_mov_b32 s33, s36
	s_cbranch_vccnz .LBB18_10
; %bb.5:
	s_xor_b32 s2, s4, -1
	s_mov_b32 s33, s22
	v_cndmask_b32_e64 v3, 0, 1, s2
	s_and_not1_b32 vcc_lo, exec_lo, s2
	s_cbranch_vccnz .LBB18_7
; %bb.6:
	s_load_b32 s33, s[22:23], 0x0
.LBB18_7:
	s_delay_alu instid0(VALU_DEP_1)
	v_cmp_ne_u32_e32 vcc_lo, 1, v3
	s_cbranch_vccnz .LBB18_9
; %bb.8:
	s_load_b32 s23, s[22:23], 0x4
.LBB18_9:
	s_waitcnt lgkmcnt(0)
	s_mov_b32 s36, s23
.LBB18_10:
	s_clause 0x1
	s_load_b128 s[20:23], s[0:1], 0x30
	s_load_b64 s[18:19], s[0:1], 0x40
	s_mov_b32 s7, 0
	s_delay_alu instid0(SALU_CYCLE_1)
	s_lshl_b64 s[2:3], s[6:7], 2
	s_waitcnt lgkmcnt(0)
	s_add_u32 s2, s22, s2
	s_addc_u32 s3, s23, s3
	s_load_b32 s22, s[2:3], 0x0
	s_load_b256 s[8:15], s[0:1], 0x8
	s_waitcnt lgkmcnt(0)
	s_ashr_i32 s23, s22, 31
	s_delay_alu instid0(SALU_CYCLE_1) | instskip(NEXT) | instid1(SALU_CYCLE_1)
	s_lshl_b64 s[26:27], s[22:23], 2
	s_add_u32 s2, s14, s26
	s_addc_u32 s3, s15, s27
	s_load_b32 s28, s[2:3], 0x0
	s_waitcnt lgkmcnt(0)
	s_cmp_eq_u32 s28, -1
	s_cbranch_scc1 .LBB18_107
; %bb.11:
	s_add_u32 s2, s8, s26
	s_addc_u32 s3, s9, s27
	s_load_b64 s[2:3], s[2:3], 0x0
	s_clause 0x1
	s_load_b64 s[30:31], s[0:1], 0x0
	s_load_b32 s23, s[0:1], 0x28
	s_waitcnt lgkmcnt(0)
	s_sub_i32 s34, s2, s24
	s_sub_i32 s25, s3, s24
	s_cmp_ge_i32 s34, s28
	s_cbranch_scc1 .LBB18_96
; %bb.12:
	v_bfe_u32 v13, v0, 10, 10
	v_dual_mov_b32 v22, 0 :: v_dual_and_b32 v3, 0x3ff, v0
	s_cmp_lg_u32 s30, 0
	s_mul_i32 s42, s23, s23
	s_delay_alu instid0(VALU_DEP_2) | instskip(NEXT) | instid1(VALU_DEP_2)
	v_lshlrev_b32_e32 v4, 5, v13
	v_lshlrev_b32_e32 v9, 3, v3
	s_cselect_b32 s29, -1, 0
	s_cmp_gt_i32 s23, 0
	v_cmp_gt_i32_e64 s0, s23, v3
	v_add3_u32 v4, v4, v3, s34
	v_mad_u32_u24 v15, 0x108, v13, v9
	s_cselect_b32 s37, -1, 0
	s_add_i32 s31, s31, 1
	v_cmp_le_i32_e64 s1, s23, v3
	v_ashrrev_i32_e32 v5, 31, v4
	v_mad_u64_u32 v[7:8], null, s23, s34, v[3:4]
	v_cmp_gt_i32_e64 s2, s23, v13
	v_cmp_eq_u32_e64 s3, 0, v13
	s_delay_alu instid0(VALU_DEP_4)
	v_lshlrev_b64 v[5:6], 2, v[4:5]
	v_add_nc_u32_e32 v14, 1, v13
	s_add_u32 s38, s8, 4
	v_cmp_gt_i32_e64 s4, s25, v4
	v_mul_lo_u32 v16, s23, v7
	v_mul_u32_u24_e32 v17, 0x108, v13
	v_add_co_u32 v5, vcc_lo, s10, v5
	v_add_co_ci_u32_e32 v6, vcc_lo, s11, v6, vcc_lo
	v_add_nc_u32_e32 v18, 0x2100, v15
	v_add_nc_u32_e32 v19, 0x2208, v15
	v_mad_u32_u24 v20, 0x108, v13, 0x108
	v_add_nc_u32_e32 v21, 0x2100, v9
	s_addc_u32 s39, s9, 0
	s_add_u32 s40, s10, 0x100
	s_addc_u32 s41, s11, 0
	s_lshl_b32 s43, s23, 5
	s_branch .LBB18_15
.LBB18_13:                              ;   in Loop: Header=BB18_15 Depth=1
	s_mov_b32 s7, -1
.LBB18_14:                              ;   in Loop: Header=BB18_15 Depth=1
	s_add_i32 s34, s34, 1
	v_add_nc_u32_e32 v16, s42, v16
	s_cmp_lt_i32 s34, s28
	s_cselect_b32 s6, -1, 0
	s_delay_alu instid0(SALU_CYCLE_1) | instskip(NEXT) | instid1(SALU_CYCLE_1)
	s_and_b32 s5, s5, s6
	s_and_b32 vcc_lo, exec_lo, s5
	s_cbranch_vccz .LBB18_96
.LBB18_15:                              ; =>This Loop Header: Depth=1
                                        ;     Child Loop BB18_18 Depth 2
                                        ;       Child Loop BB18_21 Depth 3
                                        ;     Child Loop BB18_27 Depth 2
                                        ;     Child Loop BB18_31 Depth 2
                                        ;       Child Loop BB18_34 Depth 3
                                        ;     Child Loop BB18_41 Depth 2
                                        ;       Child Loop BB18_44 Depth 3
                                        ;         Child Loop BB18_48 Depth 4
                                        ;     Child Loop BB18_52 Depth 2
                                        ;       Child Loop BB18_55 Depth 3
                                        ;     Child Loop BB18_64 Depth 2
                                        ;       Child Loop BB18_69 Depth 3
                                        ;       Child Loop BB18_78 Depth 3
                                        ;         Child Loop BB18_81 Depth 4
                                        ;       Child Loop BB18_87 Depth 3
                                        ;         Child Loop BB18_90 Depth 4
                                        ;           Child Loop BB18_91 Depth 5
	s_ashr_i32 s35, s34, 31
	s_delay_alu instid0(SALU_CYCLE_1) | instskip(NEXT) | instid1(SALU_CYCLE_1)
	s_lshl_b64 s[8:9], s[34:35], 2
	s_add_u32 s8, s10, s8
	s_addc_u32 s9, s11, s9
	global_load_b32 v7, v22, s[8:9]
	s_waitcnt vmcnt(0)
	v_readfirstlane_b32 s5, v7
	s_and_saveexec_b32 s6, s0
	s_cbranch_execz .LBB18_25
; %bb.16:                               ;   in Loop: Header=BB18_15 Depth=1
	v_dual_mov_b32 v10, v18 :: v_dual_mov_b32 v23, v16
	v_mov_b32_e32 v7, v3
	s_mul_i32 s8, s34, s23
	s_mov_b32 s9, 0
	s_set_inst_prefetch_distance 0x1
	s_branch .LBB18_18
	.p2align	6
.LBB18_17:                              ;   in Loop: Header=BB18_18 Depth=2
	s_or_b32 exec_lo, exec_lo, s35
	v_add_nc_u32_e32 v7, 32, v7
	v_add_nc_u32_e32 v23, s43, v23
	;; [unrolled: 1-line block ×3, first 2 shown]
	s_delay_alu instid0(VALU_DEP_3) | instskip(SKIP_1) | instid1(SALU_CYCLE_1)
	v_cmp_le_i32_e32 vcc_lo, s23, v7
	s_or_b32 s9, vcc_lo, s9
	s_and_not1_b32 exec_lo, exec_lo, s9
	s_cbranch_execz .LBB18_25
.LBB18_18:                              ;   Parent Loop BB18_15 Depth=1
                                        ; =>  This Loop Header: Depth=2
                                        ;       Child Loop BB18_21 Depth 3
	s_and_saveexec_b32 s35, s2
	s_cbranch_execz .LBB18_17
; %bb.19:                               ;   in Loop: Header=BB18_18 Depth=2
	v_dual_mov_b32 v24, v10 :: v_dual_mov_b32 v25, v13
	s_mov_b32 s44, 0
	s_branch .LBB18_21
	.p2align	6
.LBB18_20:                              ;   in Loop: Header=BB18_21 Depth=3
	s_delay_alu instid0(VALU_DEP_1) | instskip(SKIP_1) | instid1(VALU_DEP_2)
	v_ashrrev_i32_e32 v9, 31, v8
	v_add_nc_u32_e32 v25, 2, v25
	v_lshlrev_b64 v[8:9], 3, v[8:9]
	s_delay_alu instid0(VALU_DEP_1) | instskip(NEXT) | instid1(VALU_DEP_2)
	v_add_co_u32 v8, vcc_lo, s12, v8
	v_add_co_ci_u32_e32 v9, vcc_lo, s13, v9, vcc_lo
	s_delay_alu instid0(VALU_DEP_4)
	v_cmp_le_i32_e32 vcc_lo, s23, v25
	global_load_b64 v[8:9], v[8:9], off
	s_or_b32 s44, vcc_lo, s44
	s_waitcnt vmcnt(0)
	ds_store_b64 v24, v[8:9]
	v_add_nc_u32_e32 v24, 0x210, v24
	s_and_not1_b32 exec_lo, exec_lo, s44
	s_cbranch_execz .LBB18_17
.LBB18_21:                              ;   Parent Loop BB18_15 Depth=1
                                        ;     Parent Loop BB18_18 Depth=2
                                        ; =>    This Inner Loop Header: Depth=3
	s_and_b32 vcc_lo, exec_lo, s29
	s_cbranch_vccz .LBB18_23
; %bb.22:                               ;   in Loop: Header=BB18_21 Depth=3
	v_add_nc_u32_e32 v26, s8, v25
	s_delay_alu instid0(VALU_DEP_1)
	v_mad_u64_u32 v[8:9], null, v26, s23, v[7:8]
	s_cbranch_execnz .LBB18_20
	s_branch .LBB18_24
	.p2align	6
.LBB18_23:                              ;   in Loop: Header=BB18_21 Depth=3
                                        ; implicit-def: $vgpr8
.LBB18_24:                              ;   in Loop: Header=BB18_21 Depth=3
	v_add_nc_u32_e32 v8, v23, v25
	s_branch .LBB18_20
.LBB18_25:                              ;   in Loop: Header=BB18_15 Depth=1
	s_set_inst_prefetch_distance 0x2
	s_or_b32 exec_lo, exec_lo, s6
	s_sub_i32 s8, s5, s24
	s_delay_alu instid0(SALU_CYCLE_1) | instskip(NEXT) | instid1(SALU_CYCLE_1)
	s_ashr_i32 s9, s8, 31
	s_lshl_b64 s[8:9], s[8:9], 2
	s_delay_alu instid0(SALU_CYCLE_1)
	s_add_u32 s44, s14, s8
	s_addc_u32 s45, s15, s9
	global_load_b32 v7, v22, s[44:45]
	s_waitcnt vmcnt(0)
	v_cmp_eq_u32_e32 vcc_lo, -1, v7
	v_readfirstlane_b32 s35, v7
	v_cmp_ne_u32_e64 s5, -1, v7
	s_cbranch_vccnz .LBB18_13
; %bb.26:                               ;   in Loop: Header=BB18_15 Depth=1
	s_add_u32 s44, s38, s8
	s_addc_u32 s45, s39, s9
	s_add_u32 s8, s20, s8
	global_load_b32 v7, v22, s[44:45]
	s_addc_u32 s9, s21, s9
	s_waitcnt vmcnt(0)
	v_readfirstlane_b32 s44, v7
.LBB18_27:                              ;   Parent Loop BB18_15 Depth=1
                                        ; =>  This Inner Loop Header: Depth=2
	global_load_b32 v7, v22, s[8:9] glc
	s_waitcnt vmcnt(0)
	v_cmp_eq_u32_e32 vcc_lo, 0, v7
	s_cbranch_vccnz .LBB18_27
; %bb.28:                               ;   in Loop: Header=BB18_15 Depth=1
	s_waitcnt lgkmcnt(0)
	buffer_gl1_inv
	buffer_gl0_inv
	s_and_saveexec_b32 s6, s0
	s_cbranch_execz .LBB18_38
; %bb.29:                               ;   in Loop: Header=BB18_15 Depth=1
	s_mul_i32 s8, s35, s23
	v_mov_b32_e32 v23, v15
	v_add_nc_u32_e32 v7, s8, v3
	s_mov_b32 s9, 0
	s_delay_alu instid0(VALU_DEP_1)
	v_mul_lo_u32 v10, s23, v7
	v_mov_b32_e32 v7, v3
	s_set_inst_prefetch_distance 0x1
	s_branch .LBB18_31
	.p2align	6
.LBB18_30:                              ;   in Loop: Header=BB18_31 Depth=2
	s_or_b32 exec_lo, exec_lo, s45
	v_add_nc_u32_e32 v7, 32, v7
	v_add_nc_u32_e32 v10, s43, v10
	;; [unrolled: 1-line block ×3, first 2 shown]
	s_delay_alu instid0(VALU_DEP_3) | instskip(SKIP_1) | instid1(SALU_CYCLE_1)
	v_cmp_le_i32_e32 vcc_lo, s23, v7
	s_or_b32 s9, vcc_lo, s9
	s_and_not1_b32 exec_lo, exec_lo, s9
	s_cbranch_execz .LBB18_38
.LBB18_31:                              ;   Parent Loop BB18_15 Depth=1
                                        ; =>  This Loop Header: Depth=2
                                        ;       Child Loop BB18_34 Depth 3
	s_and_saveexec_b32 s45, s2
	s_cbranch_execz .LBB18_30
; %bb.32:                               ;   in Loop: Header=BB18_31 Depth=2
	v_dual_mov_b32 v24, v23 :: v_dual_mov_b32 v25, v13
	s_mov_b32 s46, 0
	s_branch .LBB18_34
	.p2align	6
.LBB18_33:                              ;   in Loop: Header=BB18_34 Depth=3
	s_delay_alu instid0(VALU_DEP_1) | instskip(SKIP_1) | instid1(VALU_DEP_2)
	v_ashrrev_i32_e32 v9, 31, v8
	v_add_nc_u32_e32 v25, 2, v25
	v_lshlrev_b64 v[8:9], 3, v[8:9]
	s_delay_alu instid0(VALU_DEP_1) | instskip(NEXT) | instid1(VALU_DEP_2)
	v_add_co_u32 v8, vcc_lo, s12, v8
	v_add_co_ci_u32_e32 v9, vcc_lo, s13, v9, vcc_lo
	s_delay_alu instid0(VALU_DEP_4)
	v_cmp_le_i32_e32 vcc_lo, s23, v25
	global_load_b64 v[8:9], v[8:9], off
	s_or_b32 s46, vcc_lo, s46
	s_waitcnt vmcnt(0)
	ds_store_b64 v24, v[8:9]
	v_add_nc_u32_e32 v24, 0x210, v24
	s_and_not1_b32 exec_lo, exec_lo, s46
	s_cbranch_execz .LBB18_30
.LBB18_34:                              ;   Parent Loop BB18_15 Depth=1
                                        ;     Parent Loop BB18_31 Depth=2
                                        ; =>    This Inner Loop Header: Depth=3
	s_and_b32 vcc_lo, exec_lo, s29
	s_cbranch_vccz .LBB18_36
; %bb.35:                               ;   in Loop: Header=BB18_34 Depth=3
	v_add_nc_u32_e32 v26, s8, v25
	s_delay_alu instid0(VALU_DEP_1)
	v_mad_u64_u32 v[8:9], null, v26, s23, v[7:8]
	s_cbranch_execnz .LBB18_33
	s_branch .LBB18_37
	.p2align	6
.LBB18_36:                              ;   in Loop: Header=BB18_34 Depth=3
                                        ; implicit-def: $vgpr8
.LBB18_37:                              ;   in Loop: Header=BB18_34 Depth=3
	v_add_nc_u32_e32 v8, v10, v25
	s_branch .LBB18_33
.LBB18_38:                              ;   in Loop: Header=BB18_15 Depth=1
	s_set_inst_prefetch_distance 0x2
	s_or_b32 exec_lo, exec_lo, s6
	s_delay_alu instid0(SALU_CYCLE_1)
	s_and_not1_b32 vcc_lo, exec_lo, s37
	s_waitcnt lgkmcnt(0)
	buffer_gl0_inv
	s_cbranch_vccnz .LBB18_49
; %bb.39:                               ;   in Loop: Header=BB18_15 Depth=1
	v_dual_mov_b32 v23, v20 :: v_dual_mov_b32 v24, v19
	s_mov_b32 s8, 0
	s_branch .LBB18_41
.LBB18_40:                              ;   in Loop: Header=BB18_41 Depth=2
	s_or_b32 exec_lo, exec_lo, s9
	v_add_nc_u32_e32 v24, 0x108, v24
	v_add_nc_u32_e32 v23, 0x110, v23
	s_add_i32 s8, s8, 1
	s_waitcnt lgkmcnt(0)
	buffer_gl0_inv
	s_cmp_eq_u32 s8, s23
	s_cbranch_scc1 .LBB18_49
.LBB18_41:                              ;   Parent Loop BB18_15 Depth=1
                                        ; =>  This Loop Header: Depth=2
                                        ;       Child Loop BB18_44 Depth 3
                                        ;         Child Loop BB18_48 Depth 4
	s_and_saveexec_b32 s9, s0
	s_cbranch_execz .LBB18_40
; %bb.42:                               ;   in Loop: Header=BB18_41 Depth=2
	s_lshl_b32 s6, s8, 3
	s_mul_i32 s45, s8, 0x108
	s_mov_b32 s46, 0
	s_add_i32 s6, s45, s6
	s_delay_alu instid0(SALU_CYCLE_1) | instskip(SKIP_3) | instid1(VALU_DEP_1)
	v_mov_b32_e32 v7, s6
	ds_load_b64 v[7:8], v7
	s_waitcnt lgkmcnt(0)
	v_mul_f32_e32 v9, v8, v8
	v_fmac_f32_e32 v9, v7, v7
	s_delay_alu instid0(VALU_DEP_1) | instskip(SKIP_1) | instid1(VALU_DEP_2)
	v_div_scale_f32 v10, null, v9, v9, 1.0
	v_div_scale_f32 v27, vcc_lo, 1.0, v9, 1.0
	v_rcp_f32_e32 v26, v10
	s_waitcnt_depctr 0xfff
	v_fma_f32 v25, -v10, v26, 1.0
	s_delay_alu instid0(VALU_DEP_1) | instskip(NEXT) | instid1(VALU_DEP_1)
	v_fmac_f32_e32 v26, v25, v26
	v_mul_f32_e32 v28, v27, v26
	s_delay_alu instid0(VALU_DEP_1) | instskip(NEXT) | instid1(VALU_DEP_1)
	v_fma_f32 v25, -v10, v28, v27
	v_fmac_f32_e32 v28, v25, v26
	v_add_nc_u32_e32 v25, s8, v14
	s_delay_alu instid0(VALU_DEP_2) | instskip(NEXT) | instid1(VALU_DEP_1)
	v_fma_f32 v10, -v10, v28, v27
	v_div_fmas_f32 v10, v10, v26, v28
	v_mov_b32_e32 v26, v24
	s_delay_alu instid0(VALU_DEP_4) | instskip(SKIP_1) | instid1(VALU_DEP_4)
	v_cmp_gt_i32_e32 vcc_lo, s23, v25
	v_mov_b32_e32 v28, v3
	v_div_fixup_f32 v27, v10, v9, 1.0
	s_branch .LBB18_44
.LBB18_43:                              ;   in Loop: Header=BB18_44 Depth=3
	s_or_b32 exec_lo, exec_lo, s47
	v_add_nc_u32_e32 v28, 32, v28
	v_add_nc_u32_e32 v26, 0x100, v26
	s_delay_alu instid0(VALU_DEP_2) | instskip(NEXT) | instid1(VALU_DEP_1)
	v_cmp_le_i32_e64 s6, s23, v28
	s_or_b32 s46, s6, s46
	s_delay_alu instid0(SALU_CYCLE_1)
	s_and_not1_b32 exec_lo, exec_lo, s46
	s_cbranch_execz .LBB18_40
.LBB18_44:                              ;   Parent Loop BB18_15 Depth=1
                                        ;     Parent Loop BB18_41 Depth=2
                                        ; =>    This Loop Header: Depth=3
                                        ;         Child Loop BB18_48 Depth 4
	s_delay_alu instid0(VALU_DEP_2) | instskip(SKIP_4) | instid1(VALU_DEP_1)
	v_lshl_add_u32 v29, v28, 3, s45
	ds_load_b64 v[9:10], v29 offset:8448
	s_waitcnt lgkmcnt(0)
	buffer_gl0_inv
	v_mul_f32_e64 v31, v8, -v9
	v_dual_mul_f32 v30, v8, v10 :: v_dual_fmac_f32 v31, v10, v7
	s_delay_alu instid0(VALU_DEP_1) | instskip(NEXT) | instid1(VALU_DEP_2)
	v_fmac_f32_e32 v30, v9, v7
	v_mul_f32_e32 v10, v27, v31
	s_delay_alu instid0(VALU_DEP_2)
	v_mul_f32_e32 v9, v27, v30
	s_and_saveexec_b32 s6, s3
	s_cbranch_execz .LBB18_46
; %bb.45:                               ;   in Loop: Header=BB18_44 Depth=3
	v_add_nc_u32_e32 v29, 0x2100, v29
	ds_store_b64 v29, v[9:10]
.LBB18_46:                              ;   in Loop: Header=BB18_44 Depth=3
	s_or_b32 exec_lo, exec_lo, s6
	s_and_saveexec_b32 s47, vcc_lo
	s_cbranch_execz .LBB18_43
; %bb.47:                               ;   in Loop: Header=BB18_44 Depth=3
	v_dual_mov_b32 v29, v23 :: v_dual_mov_b32 v30, v26
	v_mov_b32_e32 v31, v25
	s_mov_b32 s48, 0
	.p2align	6
.LBB18_48:                              ;   Parent Loop BB18_15 Depth=1
                                        ;     Parent Loop BB18_41 Depth=2
                                        ;       Parent Loop BB18_44 Depth=3
                                        ; =>      This Inner Loop Header: Depth=4
	ds_load_b64 v[32:33], v29
	ds_load_b64 v[34:35], v30
	v_add_nc_u32_e32 v29, 0x210, v29
	s_waitcnt lgkmcnt(0)
	v_fma_f32 v34, -v9, v32, v34
	v_fma_f32 v32, -v10, v32, v35
	s_delay_alu instid0(VALU_DEP_2) | instskip(NEXT) | instid1(VALU_DEP_2)
	v_dual_fmac_f32 v34, v10, v33 :: v_dual_add_nc_u32 v31, 2, v31
	v_fma_f32 v35, -v9, v33, v32
	s_delay_alu instid0(VALU_DEP_2) | instskip(SKIP_3) | instid1(SALU_CYCLE_1)
	v_cmp_le_i32_e64 s6, s23, v31
	ds_store_b64 v30, v[34:35]
	v_add_nc_u32_e32 v30, 0x210, v30
	s_or_b32 s48, s6, s48
	s_and_not1_b32 exec_lo, exec_lo, s48
	s_cbranch_execnz .LBB18_48
	s_branch .LBB18_43
.LBB18_49:                              ;   in Loop: Header=BB18_15 Depth=1
	s_and_saveexec_b32 s8, s0
	s_cbranch_execz .LBB18_59
; %bb.50:                               ;   in Loop: Header=BB18_15 Depth=1
	v_dual_mov_b32 v10, v18 :: v_dual_mov_b32 v23, v16
	v_mov_b32_e32 v7, v3
	s_mul_i32 s9, s34, s23
	s_mov_b32 s45, 0
	s_set_inst_prefetch_distance 0x1
	s_branch .LBB18_52
	.p2align	6
.LBB18_51:                              ;   in Loop: Header=BB18_52 Depth=2
	s_or_b32 exec_lo, exec_lo, s46
	v_add_nc_u32_e32 v7, 32, v7
	v_add_nc_u32_e32 v23, s43, v23
	;; [unrolled: 1-line block ×3, first 2 shown]
	s_delay_alu instid0(VALU_DEP_3) | instskip(SKIP_1) | instid1(SALU_CYCLE_1)
	v_cmp_le_i32_e32 vcc_lo, s23, v7
	s_or_b32 s45, vcc_lo, s45
	s_and_not1_b32 exec_lo, exec_lo, s45
	s_cbranch_execz .LBB18_59
.LBB18_52:                              ;   Parent Loop BB18_15 Depth=1
                                        ; =>  This Loop Header: Depth=2
                                        ;       Child Loop BB18_55 Depth 3
	s_and_saveexec_b32 s46, s2
	s_cbranch_execz .LBB18_51
; %bb.53:                               ;   in Loop: Header=BB18_52 Depth=2
	v_dual_mov_b32 v24, v10 :: v_dual_mov_b32 v25, v13
	s_mov_b32 s47, 0
	s_branch .LBB18_55
	.p2align	6
.LBB18_54:                              ;   in Loop: Header=BB18_55 Depth=3
	ds_load_b64 v[26:27], v24
	v_ashrrev_i32_e32 v9, 31, v8
	v_add_nc_u32_e32 v25, 2, v25
	v_add_nc_u32_e32 v24, 0x210, v24
	s_delay_alu instid0(VALU_DEP_3) | instskip(NEXT) | instid1(VALU_DEP_3)
	v_lshlrev_b64 v[8:9], 3, v[8:9]
	v_cmp_le_i32_e32 vcc_lo, s23, v25
	s_or_b32 s47, vcc_lo, s47
	s_delay_alu instid0(VALU_DEP_2) | instskip(NEXT) | instid1(VALU_DEP_1)
	v_add_co_u32 v8, s6, s12, v8
	v_add_co_ci_u32_e64 v9, s6, s13, v9, s6
	s_waitcnt lgkmcnt(0)
	global_store_b64 v[8:9], v[26:27], off
	s_and_not1_b32 exec_lo, exec_lo, s47
	s_cbranch_execz .LBB18_51
.LBB18_55:                              ;   Parent Loop BB18_15 Depth=1
                                        ;     Parent Loop BB18_52 Depth=2
                                        ; =>    This Inner Loop Header: Depth=3
	s_and_b32 vcc_lo, exec_lo, s29
	s_cbranch_vccz .LBB18_57
; %bb.56:                               ;   in Loop: Header=BB18_55 Depth=3
	v_add_nc_u32_e32 v26, s9, v25
	s_delay_alu instid0(VALU_DEP_1)
	v_mad_u64_u32 v[8:9], null, v26, s23, v[7:8]
	s_cbranch_execnz .LBB18_54
	s_branch .LBB18_58
	.p2align	6
.LBB18_57:                              ;   in Loop: Header=BB18_55 Depth=3
                                        ; implicit-def: $vgpr8
.LBB18_58:                              ;   in Loop: Header=BB18_55 Depth=3
	v_add_nc_u32_e32 v8, v23, v25
	s_branch .LBB18_54
.LBB18_59:                              ;   in Loop: Header=BB18_15 Depth=1
	s_set_inst_prefetch_distance 0x2
	s_or_b32 exec_lo, exec_lo, s8
	s_sub_i32 s6, s44, s24
	s_add_i32 s8, s35, 1
	s_delay_alu instid0(SALU_CYCLE_1)
	s_cmp_ge_i32 s8, s6
	s_cbranch_scc1 .LBB18_14
; %bb.60:                               ;   in Loop: Header=BB18_15 Depth=1
	v_mad_u64_u32 v[7:8], null, s23, s8, v[3:4]
	s_delay_alu instid0(VALU_DEP_1)
	v_mul_lo_u32 v10, s23, v7
	s_branch .LBB18_64
.LBB18_61:                              ;   in Loop: Header=BB18_64 Depth=2
	s_or_b32 exec_lo, exec_lo, s35
.LBB18_62:                              ;   in Loop: Header=BB18_64 Depth=2
	s_delay_alu instid0(SALU_CYCLE_1)
	s_or_b32 exec_lo, exec_lo, s9
.LBB18_63:                              ;   in Loop: Header=BB18_64 Depth=2
	v_add_nc_u32_e32 v10, s42, v10
	s_add_i32 s8, s8, 1
	s_waitcnt lgkmcnt(0)
	s_waitcnt_vscnt null, 0x0
	buffer_gl0_inv
	s_cmp_lt_i32 s8, s6
	s_cbranch_scc0 .LBB18_14
.LBB18_64:                              ;   Parent Loop BB18_15 Depth=1
                                        ; =>  This Loop Header: Depth=2
                                        ;       Child Loop BB18_69 Depth 3
                                        ;       Child Loop BB18_78 Depth 3
                                        ;         Child Loop BB18_81 Depth 4
                                        ;       Child Loop BB18_87 Depth 3
                                        ;         Child Loop BB18_90 Depth 4
                                        ;           Child Loop BB18_91 Depth 5
	s_ashr_i32 s9, s8, 31
	v_mov_b32_e32 v8, s31
	s_lshl_b64 s[44:45], s[8:9], 2
	s_delay_alu instid0(SALU_CYCLE_1)
	s_add_u32 s44, s10, s44
	s_addc_u32 s45, s11, s45
	global_load_b32 v7, v22, s[44:45]
	s_and_saveexec_b32 s9, s4
	s_cbranch_execz .LBB18_66
; %bb.65:                               ;   in Loop: Header=BB18_64 Depth=2
	global_load_b32 v8, v[5:6], off
	s_waitcnt vmcnt(0)
	v_subrev_nc_u32_e32 v8, s24, v8
.LBB18_66:                              ;   in Loop: Header=BB18_64 Depth=2
	s_or_b32 exec_lo, exec_lo, s9
	s_waitcnt vmcnt(0)
	v_subrev_nc_u32_e32 v9, s24, v7
	v_mov_b32_e32 v23, v4
	s_mov_b32 s9, exec_lo
	s_delay_alu instid0(VALU_DEP_2)
	v_cmpx_lt_i32_e64 v8, v9
	s_cbranch_execz .LBB18_72
; %bb.67:                               ;   in Loop: Header=BB18_64 Depth=2
	v_mov_b32_e32 v7, v4
	s_mov_b32 s35, 0
	s_branch .LBB18_69
	.p2align	6
.LBB18_68:                              ;   in Loop: Header=BB18_69 Depth=3
	s_or_b32 exec_lo, exec_lo, s44
	s_delay_alu instid0(VALU_DEP_1) | instskip(SKIP_2) | instid1(SALU_CYCLE_1)
	v_cmp_ge_i32_e32 vcc_lo, v8, v9
	v_mov_b32_e32 v7, v23
	s_or_b32 s35, vcc_lo, s35
	s_and_not1_b32 exec_lo, exec_lo, s35
	s_cbranch_execz .LBB18_71
.LBB18_69:                              ;   Parent Loop BB18_15 Depth=1
                                        ;     Parent Loop BB18_64 Depth=2
                                        ; =>    This Inner Loop Header: Depth=3
	s_delay_alu instid0(VALU_DEP_1) | instskip(SKIP_1) | instid1(VALU_DEP_1)
	v_dual_mov_b32 v8, s31 :: v_dual_add_nc_u32 v23, 64, v7
	s_mov_b32 s44, exec_lo
	v_cmpx_gt_i32_e64 s25, v23
	s_cbranch_execz .LBB18_68
; %bb.70:                               ;   in Loop: Header=BB18_69 Depth=3
	v_ashrrev_i32_e32 v8, 31, v7
	s_delay_alu instid0(VALU_DEP_1) | instskip(NEXT) | instid1(VALU_DEP_1)
	v_lshlrev_b64 v[7:8], 2, v[7:8]
	v_add_co_u32 v7, vcc_lo, s40, v7
	s_delay_alu instid0(VALU_DEP_2)
	v_add_co_ci_u32_e32 v8, vcc_lo, s41, v8, vcc_lo
	global_load_b32 v7, v[7:8], off
	s_waitcnt vmcnt(0)
	v_subrev_nc_u32_e32 v8, s24, v7
	s_branch .LBB18_68
.LBB18_71:                              ;   in Loop: Header=BB18_64 Depth=2
	s_or_b32 exec_lo, exec_lo, s35
.LBB18_72:                              ;   in Loop: Header=BB18_64 Depth=2
	s_delay_alu instid0(SALU_CYCLE_1)
	s_or_b32 exec_lo, exec_lo, s9
	v_cmp_eq_u32_e32 vcc_lo, v8, v9
	s_cbranch_vccz .LBB18_63
; %bb.73:                               ;   in Loop: Header=BB18_64 Depth=2
	s_ctz_i32_b32 s9, vcc_lo
	s_delay_alu instid0(SALU_CYCLE_1) | instskip(NEXT) | instid1(SALU_CYCLE_1)
	s_lshl_b32 s9, s9, 2
	v_mov_b32_e32 v7, s9
	ds_bpermute_b32 v23, v7, v23
	s_and_saveexec_b32 s9, s1
	s_delay_alu instid0(SALU_CYCLE_1)
	s_xor_b32 s9, exec_lo, s9
	s_cbranch_execz .LBB18_75
; %bb.74:                               ;   in Loop: Header=BB18_64 Depth=2
	s_waitcnt lgkmcnt(0)
	s_waitcnt_vscnt null, 0x0
	buffer_gl0_inv
                                        ; implicit-def: $vgpr23
.LBB18_75:                              ;   in Loop: Header=BB18_64 Depth=2
	s_and_not1_saveexec_b32 s9, s9
	s_cbranch_execz .LBB18_62
; %bb.76:                               ;   in Loop: Header=BB18_64 Depth=2
	v_dual_mov_b32 v24, v15 :: v_dual_mov_b32 v25, v10
	v_mov_b32_e32 v7, v3
	s_mul_i32 s44, s8, s23
	s_mov_b32 s35, 0
	s_set_inst_prefetch_distance 0x1
	s_branch .LBB18_78
	.p2align	6
.LBB18_77:                              ;   in Loop: Header=BB18_78 Depth=3
	s_or_b32 exec_lo, exec_lo, s45
	v_add_nc_u32_e32 v7, 32, v7
	v_add_nc_u32_e32 v25, s43, v25
	;; [unrolled: 1-line block ×3, first 2 shown]
	s_delay_alu instid0(VALU_DEP_3) | instskip(SKIP_1) | instid1(SALU_CYCLE_1)
	v_cmp_le_i32_e32 vcc_lo, s23, v7
	s_or_b32 s35, vcc_lo, s35
	s_and_not1_b32 exec_lo, exec_lo, s35
	s_cbranch_execz .LBB18_85
.LBB18_78:                              ;   Parent Loop BB18_15 Depth=1
                                        ;     Parent Loop BB18_64 Depth=2
                                        ; =>    This Loop Header: Depth=3
                                        ;         Child Loop BB18_81 Depth 4
	s_and_saveexec_b32 s45, s2
	s_cbranch_execz .LBB18_77
; %bb.79:                               ;   in Loop: Header=BB18_78 Depth=3
	v_dual_mov_b32 v26, v24 :: v_dual_mov_b32 v27, v13
	s_mov_b32 s46, 0
	s_branch .LBB18_81
	.p2align	6
.LBB18_80:                              ;   in Loop: Header=BB18_81 Depth=4
	s_delay_alu instid0(VALU_DEP_1) | instskip(SKIP_1) | instid1(VALU_DEP_2)
	v_ashrrev_i32_e32 v9, 31, v8
	v_add_nc_u32_e32 v27, 2, v27
	v_lshlrev_b64 v[8:9], 3, v[8:9]
	s_delay_alu instid0(VALU_DEP_1) | instskip(NEXT) | instid1(VALU_DEP_2)
	v_add_co_u32 v8, vcc_lo, s12, v8
	v_add_co_ci_u32_e32 v9, vcc_lo, s13, v9, vcc_lo
	s_delay_alu instid0(VALU_DEP_4)
	v_cmp_le_i32_e32 vcc_lo, s23, v27
	global_load_b64 v[8:9], v[8:9], off
	s_or_b32 s46, vcc_lo, s46
	s_waitcnt vmcnt(0)
	ds_store_b64 v26, v[8:9]
	v_add_nc_u32_e32 v26, 0x210, v26
	s_and_not1_b32 exec_lo, exec_lo, s46
	s_cbranch_execz .LBB18_77
.LBB18_81:                              ;   Parent Loop BB18_15 Depth=1
                                        ;     Parent Loop BB18_64 Depth=2
                                        ;       Parent Loop BB18_78 Depth=3
                                        ; =>      This Inner Loop Header: Depth=4
	s_and_b32 vcc_lo, exec_lo, s29
	s_cbranch_vccz .LBB18_83
; %bb.82:                               ;   in Loop: Header=BB18_81 Depth=4
	v_add_nc_u32_e32 v28, s44, v27
	s_delay_alu instid0(VALU_DEP_1)
	v_mad_u64_u32 v[8:9], null, v28, s23, v[7:8]
	s_cbranch_execnz .LBB18_80
	s_branch .LBB18_84
	.p2align	6
.LBB18_83:                              ;   in Loop: Header=BB18_81 Depth=4
                                        ; implicit-def: $vgpr8
.LBB18_84:                              ;   in Loop: Header=BB18_81 Depth=4
	v_add_nc_u32_e32 v8, v25, v27
	s_branch .LBB18_80
.LBB18_85:                              ;   in Loop: Header=BB18_64 Depth=2
	s_set_inst_prefetch_distance 0x2
	s_or_b32 exec_lo, exec_lo, s35
	s_waitcnt lgkmcnt(0)
	v_mul_lo_u32 v23, v23, s23
	v_dual_mov_b32 v24, v21 :: v_dual_mov_b32 v7, v3
	s_mov_b32 s35, 0
	s_waitcnt_vscnt null, 0x0
	buffer_gl0_inv
	s_branch .LBB18_87
.LBB18_86:                              ;   in Loop: Header=BB18_87 Depth=3
	s_or_b32 exec_lo, exec_lo, s44
	v_add_nc_u32_e32 v7, 32, v7
	v_add_nc_u32_e32 v24, 0x100, v24
	s_delay_alu instid0(VALU_DEP_2) | instskip(SKIP_1) | instid1(SALU_CYCLE_1)
	v_cmp_le_i32_e32 vcc_lo, s23, v7
	s_or_b32 s35, vcc_lo, s35
	s_and_not1_b32 exec_lo, exec_lo, s35
	s_cbranch_execz .LBB18_61
.LBB18_87:                              ;   Parent Loop BB18_15 Depth=1
                                        ;     Parent Loop BB18_64 Depth=2
                                        ; =>    This Loop Header: Depth=3
                                        ;         Child Loop BB18_90 Depth 4
                                        ;           Child Loop BB18_91 Depth 5
	s_and_saveexec_b32 s44, s2
	s_cbranch_execz .LBB18_86
; %bb.88:                               ;   in Loop: Header=BB18_87 Depth=3
	v_dual_mov_b32 v27, v13 :: v_dual_add_nc_u32 v8, v7, v23
	v_mov_b32_e32 v26, v17
	s_mov_b32 s45, 0
	s_delay_alu instid0(VALU_DEP_2)
	v_mul_lo_u32 v25, v8, s23
	s_branch .LBB18_90
.LBB18_89:                              ;   in Loop: Header=BB18_90 Depth=4
	s_delay_alu instid0(VALU_DEP_1) | instskip(SKIP_1) | instid1(VALU_DEP_2)
	v_ashrrev_i32_e32 v9, 31, v8
	v_add_nc_u32_e32 v26, 0x210, v26
	v_lshlrev_b64 v[8:9], 3, v[8:9]
	s_delay_alu instid0(VALU_DEP_1) | instskip(NEXT) | instid1(VALU_DEP_2)
	v_add_co_u32 v8, vcc_lo, s12, v8
	v_add_co_ci_u32_e32 v9, vcc_lo, s13, v9, vcc_lo
	global_load_b64 v[30:31], v[8:9], off
	s_waitcnt vmcnt(0)
	v_dual_sub_f32 v28, v30, v28 :: v_dual_add_nc_u32 v27, 2, v27
	s_delay_alu instid0(VALU_DEP_1)
	v_cmp_le_i32_e32 vcc_lo, s23, v27
	v_sub_f32_e32 v29, v31, v29
	s_or_b32 s45, vcc_lo, s45
	global_store_b64 v[8:9], v[28:29], off
	s_and_not1_b32 exec_lo, exec_lo, s45
	s_cbranch_execz .LBB18_86
.LBB18_90:                              ;   Parent Loop BB18_15 Depth=1
                                        ;     Parent Loop BB18_64 Depth=2
                                        ;       Parent Loop BB18_87 Depth=3
                                        ; =>      This Loop Header: Depth=4
                                        ;           Child Loop BB18_91 Depth 5
	s_delay_alu instid0(VALU_DEP_2)
	v_dual_mov_b32 v28, 0 :: v_dual_mov_b32 v9, v26
	v_dual_mov_b32 v8, v24 :: v_dual_mov_b32 v29, 0
	s_mov_b32 s46, s23
.LBB18_91:                              ;   Parent Loop BB18_15 Depth=1
                                        ;     Parent Loop BB18_64 Depth=2
                                        ;       Parent Loop BB18_87 Depth=3
                                        ;         Parent Loop BB18_90 Depth=4
                                        ; =>        This Inner Loop Header: Depth=5
	ds_load_b64 v[30:31], v8
	ds_load_b64 v[32:33], v9
	s_add_i32 s46, s46, -1
	v_add_nc_u32_e32 v9, 8, v9
	s_cmp_eq_u32 s46, 0
	s_waitcnt lgkmcnt(0)
	v_fmac_f32_e32 v28, v30, v32
	v_fmac_f32_e32 v29, v31, v32
	v_add_nc_u32_e32 v8, 0x108, v8
	s_delay_alu instid0(VALU_DEP_3) | instskip(NEXT) | instid1(VALU_DEP_3)
	v_fma_f32 v28, -v31, v33, v28
	v_fmac_f32_e32 v29, v30, v33
	s_cbranch_scc0 .LBB18_91
; %bb.92:                               ;   in Loop: Header=BB18_90 Depth=4
	s_and_b32 vcc_lo, exec_lo, s29
	s_cbranch_vccz .LBB18_94
; %bb.93:                               ;   in Loop: Header=BB18_90 Depth=4
	v_add_nc_u32_e32 v30, v27, v23
	s_delay_alu instid0(VALU_DEP_1)
	v_mad_u64_u32 v[8:9], null, v30, s23, v[7:8]
	s_cbranch_execnz .LBB18_89
	s_branch .LBB18_95
.LBB18_94:                              ;   in Loop: Header=BB18_90 Depth=4
                                        ; implicit-def: $vgpr8
.LBB18_95:                              ;   in Loop: Header=BB18_90 Depth=4
	v_add_nc_u32_e32 v8, v27, v25
	s_branch .LBB18_89
.LBB18_96:
	s_ashr_i32 s29, s28, 31
	v_mov_b32_e32 v3, 0
	s_lshl_b64 s[0:1], s[28:29], 2
	s_delay_alu instid0(SALU_CYCLE_1) | instskip(SKIP_4) | instid1(VALU_DEP_1)
	s_add_u32 s0, s10, s0
	s_addc_u32 s1, s11, s1
	global_load_b32 v3, v3, s[0:1]
	s_waitcnt vmcnt(0)
	v_subrev_nc_u32_e32 v3, s24, v3
	v_cmp_ne_u32_e32 vcc_lo, s22, v3
	s_cbranch_vccnz .LBB18_147
; %bb.97:
	v_and_b32_e32 v3, 0x3ff, v0
	s_delay_alu instid0(VALU_DEP_1) | instskip(SKIP_1) | instid1(VALU_DEP_2)
	v_cmp_gt_i32_e64 s0, s23, v3
	v_lshlrev_b32_e32 v10, 3, v3
	s_and_saveexec_b32 s2, s0
	s_cbranch_execz .LBB18_108
; %bb.98:
	s_mul_i32 s3, s28, s23
	v_bfe_u32 v7, v0, 10, 10
	v_add_nc_u32_e32 v4, s3, v3
	v_lshlrev_b32_e32 v5, 3, v3
	s_cmp_lg_u32 s30, 0
	s_mov_b32 s4, 0
	v_cmp_gt_u32_e64 s1, s23, v7
	v_mul_lo_u32 v8, s23, v4
	v_mov_b32_e32 v4, v3
	v_mad_u32_u24 v9, 0x108, v7, v5
	s_cselect_b32 s5, -1, 0
	s_lshl_b32 s6, s23, 5
	s_set_inst_prefetch_distance 0x1
	s_branch .LBB18_100
	.p2align	6
.LBB18_99:                              ;   in Loop: Header=BB18_100 Depth=1
	s_or_b32 exec_lo, exec_lo, s8
	v_add_nc_u32_e32 v4, 32, v4
	v_add_nc_u32_e32 v8, s6, v8
	;; [unrolled: 1-line block ×3, first 2 shown]
	s_delay_alu instid0(VALU_DEP_3) | instskip(SKIP_1) | instid1(SALU_CYCLE_1)
	v_cmp_le_i32_e32 vcc_lo, s23, v4
	s_or_b32 s4, vcc_lo, s4
	s_and_not1_b32 exec_lo, exec_lo, s4
	s_cbranch_execz .LBB18_108
.LBB18_100:                             ; =>This Loop Header: Depth=1
                                        ;     Child Loop BB18_103 Depth 2
	s_and_saveexec_b32 s8, s1
	s_cbranch_execz .LBB18_99
; %bb.101:                              ;   in Loop: Header=BB18_100 Depth=1
	v_dual_mov_b32 v13, v9 :: v_dual_mov_b32 v14, v7
	s_mov_b32 s9, 0
	s_branch .LBB18_103
	.p2align	6
.LBB18_102:                             ;   in Loop: Header=BB18_103 Depth=2
	s_delay_alu instid0(VALU_DEP_1) | instskip(SKIP_1) | instid1(VALU_DEP_2)
	v_ashrrev_i32_e32 v6, 31, v5
	v_add_nc_u32_e32 v14, 2, v14
	v_lshlrev_b64 v[5:6], 3, v[5:6]
	s_delay_alu instid0(VALU_DEP_1) | instskip(NEXT) | instid1(VALU_DEP_2)
	v_add_co_u32 v5, vcc_lo, s12, v5
	v_add_co_ci_u32_e32 v6, vcc_lo, s13, v6, vcc_lo
	s_delay_alu instid0(VALU_DEP_4)
	v_cmp_le_i32_e32 vcc_lo, s23, v14
	global_load_b64 v[5:6], v[5:6], off
	s_or_b32 s9, vcc_lo, s9
	s_waitcnt vmcnt(0)
	ds_store_b64 v13, v[5:6]
	v_add_nc_u32_e32 v13, 0x210, v13
	s_and_not1_b32 exec_lo, exec_lo, s9
	s_cbranch_execz .LBB18_99
.LBB18_103:                             ;   Parent Loop BB18_100 Depth=1
                                        ; =>  This Inner Loop Header: Depth=2
	s_and_b32 vcc_lo, exec_lo, s5
	s_cbranch_vccz .LBB18_105
; %bb.104:                              ;   in Loop: Header=BB18_103 Depth=2
	v_add_nc_u32_e32 v15, s3, v14
	s_delay_alu instid0(VALU_DEP_1)
	v_mad_u64_u32 v[5:6], null, v15, s23, v[4:5]
	s_cbranch_execnz .LBB18_102
	s_branch .LBB18_106
	.p2align	6
.LBB18_105:                             ;   in Loop: Header=BB18_103 Depth=2
                                        ; implicit-def: $vgpr5
.LBB18_106:                             ;   in Loop: Header=BB18_103 Depth=2
	v_add_nc_u32_e32 v5, v8, v14
	s_branch .LBB18_102
.LBB18_107:
	s_mov_b32 s7, -1
	s_branch .LBB18_180
.LBB18_108:
	s_set_inst_prefetch_distance 0x2
	s_or_b32 exec_lo, exec_lo, s2
	s_cmp_lt_i32 s23, 1
	s_waitcnt lgkmcnt(0)
	s_waitcnt_vscnt null, 0x0
	buffer_gl0_inv
	s_cbranch_scc1 .LBB18_136
; %bb.109:
	v_cvt_f64_f32_e32 v[4:5], v12
	v_bfe_u32 v12, v0, 10, 10
	s_cmp_eq_u64 s[16:17], 8
	s_mov_b32 s4, 0
	s_cselect_b32 vcc_lo, -1, 0
	s_delay_alu instid0(VALU_DEP_1) | instskip(SKIP_1) | instid1(VALU_DEP_2)
	v_or_b32_e32 v6, v3, v12
	v_cmp_eq_u32_e64 s1, 0, v12
	v_cmp_eq_u32_e64 s2, 0, v6
	v_dual_cndmask_b32 v2, v5, v2 :: v_dual_cndmask_b32 v1, v4, v1
	v_mad_u32_u24 v4, 0x108, v12, 0x108
.LBB18_110:                             ; =>This Loop Header: Depth=1
                                        ;     Child Loop BB18_127 Depth 2
                                        ;       Child Loop BB18_131 Depth 3
	s_lshl_b32 s3, s4, 3
	s_mul_i32 s5, s4, 0x108
	v_cmp_ne_u32_e32 vcc_lo, 1, v11
	s_add_i32 s6, s5, s3
	s_delay_alu instid0(SALU_CYCLE_1)
	v_mov_b32_e32 v5, s6
	s_waitcnt lgkmcnt(0)
	ds_load_b64 v[7:8], v5
	s_cbranch_vccnz .LBB18_119
; %bb.111:                              ;   in Loop: Header=BB18_110 Depth=1
	s_waitcnt lgkmcnt(0)
	v_cmp_gt_f32_e32 vcc_lo, 0, v7
	v_cndmask_b32_e64 v5, v7, -v7, vcc_lo
	v_cmp_gt_f32_e32 vcc_lo, 0, v8
	v_cndmask_b32_e64 v6, v8, -v8, vcc_lo
	s_delay_alu instid0(VALU_DEP_1)
	v_cmp_ngt_f32_e32 vcc_lo, v5, v6
	s_cbranch_vccz .LBB18_135
; %bb.112:                              ;   in Loop: Header=BB18_110 Depth=1
	v_cmp_eq_f32_e32 vcc_lo, 0, v8
	v_mov_b32_e32 v9, 0
	s_mov_b32 s8, 0
	s_cbranch_vccnz .LBB18_114
; %bb.113:                              ;   in Loop: Header=BB18_110 Depth=1
	v_div_scale_f32 v9, null, v6, v6, v5
	v_div_scale_f32 v15, vcc_lo, v5, v6, v5
	s_delay_alu instid0(VALU_DEP_2) | instskip(SKIP_2) | instid1(VALU_DEP_1)
	v_rcp_f32_e32 v13, v9
	s_waitcnt_depctr 0xfff
	v_fma_f32 v14, -v9, v13, 1.0
	v_fmac_f32_e32 v13, v14, v13
	s_delay_alu instid0(VALU_DEP_1) | instskip(NEXT) | instid1(VALU_DEP_1)
	v_mul_f32_e32 v14, v15, v13
	v_fma_f32 v16, -v9, v14, v15
	s_delay_alu instid0(VALU_DEP_1) | instskip(NEXT) | instid1(VALU_DEP_1)
	v_fmac_f32_e32 v14, v16, v13
	v_fma_f32 v9, -v9, v14, v15
	s_delay_alu instid0(VALU_DEP_1) | instskip(NEXT) | instid1(VALU_DEP_1)
	v_div_fmas_f32 v9, v9, v13, v14
	v_div_fixup_f32 v9, v9, v6, v5
	s_delay_alu instid0(VALU_DEP_1) | instskip(NEXT) | instid1(VALU_DEP_1)
	v_fma_f32 v9, v9, v9, 1.0
	v_mul_f32_e32 v13, 0x4f800000, v9
	v_cmp_gt_f32_e32 vcc_lo, 0xf800000, v9
	s_delay_alu instid0(VALU_DEP_2) | instskip(NEXT) | instid1(VALU_DEP_1)
	v_cndmask_b32_e32 v9, v9, v13, vcc_lo
	v_sqrt_f32_e32 v13, v9
	s_waitcnt_depctr 0xfff
	v_add_nc_u32_e32 v14, -1, v13
	v_add_nc_u32_e32 v15, 1, v13
	s_delay_alu instid0(VALU_DEP_2) | instskip(NEXT) | instid1(VALU_DEP_2)
	v_fma_f32 v16, -v14, v13, v9
	v_fma_f32 v17, -v15, v13, v9
	s_delay_alu instid0(VALU_DEP_2) | instskip(NEXT) | instid1(VALU_DEP_1)
	v_cmp_ge_f32_e64 s3, 0, v16
	v_cndmask_b32_e64 v13, v13, v14, s3
	s_delay_alu instid0(VALU_DEP_3) | instskip(NEXT) | instid1(VALU_DEP_1)
	v_cmp_lt_f32_e64 s3, 0, v17
	v_cndmask_b32_e64 v13, v13, v15, s3
	s_delay_alu instid0(VALU_DEP_1) | instskip(NEXT) | instid1(VALU_DEP_1)
	v_mul_f32_e32 v14, 0x37800000, v13
	v_cndmask_b32_e32 v13, v13, v14, vcc_lo
	v_cmp_class_f32_e64 vcc_lo, v9, 0x260
	s_delay_alu instid0(VALU_DEP_2) | instskip(NEXT) | instid1(VALU_DEP_1)
	v_cndmask_b32_e32 v9, v13, v9, vcc_lo
	v_mul_f32_e32 v9, v6, v9
.LBB18_114:                             ;   in Loop: Header=BB18_110 Depth=1
	s_and_not1_b32 vcc_lo, exec_lo, s8
	s_cbranch_vccnz .LBB18_116
.LBB18_115:                             ;   in Loop: Header=BB18_110 Depth=1
	v_div_scale_f32 v9, null, v5, v5, v6
	v_div_scale_f32 v15, vcc_lo, v6, v5, v6
	s_delay_alu instid0(VALU_DEP_2) | instskip(SKIP_2) | instid1(VALU_DEP_1)
	v_rcp_f32_e32 v13, v9
	s_waitcnt_depctr 0xfff
	v_fma_f32 v14, -v9, v13, 1.0
	v_fmac_f32_e32 v13, v14, v13
	s_delay_alu instid0(VALU_DEP_1) | instskip(NEXT) | instid1(VALU_DEP_1)
	v_mul_f32_e32 v14, v15, v13
	v_fma_f32 v16, -v9, v14, v15
	s_delay_alu instid0(VALU_DEP_1) | instskip(NEXT) | instid1(VALU_DEP_1)
	v_fmac_f32_e32 v14, v16, v13
	v_fma_f32 v9, -v9, v14, v15
	s_delay_alu instid0(VALU_DEP_1) | instskip(NEXT) | instid1(VALU_DEP_1)
	v_div_fmas_f32 v9, v9, v13, v14
	v_div_fixup_f32 v6, v9, v5, v6
	s_delay_alu instid0(VALU_DEP_1) | instskip(NEXT) | instid1(VALU_DEP_1)
	v_fma_f32 v6, v6, v6, 1.0
	v_mul_f32_e32 v9, 0x4f800000, v6
	v_cmp_gt_f32_e32 vcc_lo, 0xf800000, v6
	s_delay_alu instid0(VALU_DEP_2) | instskip(NEXT) | instid1(VALU_DEP_1)
	v_cndmask_b32_e32 v6, v6, v9, vcc_lo
	v_sqrt_f32_e32 v9, v6
	s_waitcnt_depctr 0xfff
	v_add_nc_u32_e32 v13, -1, v9
	v_add_nc_u32_e32 v14, 1, v9
	s_delay_alu instid0(VALU_DEP_2) | instskip(NEXT) | instid1(VALU_DEP_2)
	v_fma_f32 v15, -v13, v9, v6
	v_fma_f32 v16, -v14, v9, v6
	s_delay_alu instid0(VALU_DEP_2) | instskip(NEXT) | instid1(VALU_DEP_1)
	v_cmp_ge_f32_e64 s3, 0, v15
	v_cndmask_b32_e64 v9, v9, v13, s3
	s_delay_alu instid0(VALU_DEP_3) | instskip(NEXT) | instid1(VALU_DEP_1)
	v_cmp_lt_f32_e64 s3, 0, v16
	v_cndmask_b32_e64 v9, v9, v14, s3
	s_delay_alu instid0(VALU_DEP_1) | instskip(NEXT) | instid1(VALU_DEP_1)
	v_mul_f32_e32 v13, 0x37800000, v9
	v_cndmask_b32_e32 v9, v9, v13, vcc_lo
	v_cmp_class_f32_e64 vcc_lo, v6, 0x260
	s_delay_alu instid0(VALU_DEP_2) | instskip(NEXT) | instid1(VALU_DEP_1)
	v_cndmask_b32_e32 v6, v9, v6, vcc_lo
	v_mul_f32_e32 v9, v5, v6
.LBB18_116:                             ;   in Loop: Header=BB18_110 Depth=1
	s_delay_alu instid0(VALU_DEP_1)
	v_cvt_f64_f32_e32 v[5:6], v9
	buffer_gl0_inv
	v_cmp_ge_f64_e32 vcc_lo, v[1:2], v[5:6]
	v_cndmask_b32_e64 v5, v7, s33, vcc_lo
	v_cndmask_b32_e64 v6, v8, s36, vcc_lo
	s_and_saveexec_b32 s3, s2
	s_cbranch_execz .LBB18_118
; %bb.117:                              ;   in Loop: Header=BB18_110 Depth=1
	v_mov_b32_e32 v9, s6
	ds_store_b64 v9, v[5:6]
.LBB18_118:                             ;   in Loop: Header=BB18_110 Depth=1
	s_or_b32 exec_lo, exec_lo, s3
	s_mov_b32 s3, -1
	s_mov_b32 s8, 0
	s_branch .LBB18_121
.LBB18_119:                             ;   in Loop: Header=BB18_110 Depth=1
	s_mov_b32 s3, 0
                                        ; implicit-def: $vgpr5
	s_mov_b32 s8, 0
	s_cbranch_execz .LBB18_121
; %bb.120:                              ;   in Loop: Header=BB18_110 Depth=1
	s_waitcnt lgkmcnt(0)
	v_cmp_neq_f32_e32 vcc_lo, 0, v7
	v_cmp_neq_f32_e64 s3, 0, v8
	v_dual_mov_b32 v5, v7 :: v_dual_mov_b32 v6, v8
	s_mov_b32 s8, -1
	s_delay_alu instid0(VALU_DEP_2)
	s_or_b32 s3, vcc_lo, s3
.LBB18_121:                             ;   in Loop: Header=BB18_110 Depth=1
	s_delay_alu instid0(SALU_CYCLE_1)
	s_and_not1_b32 vcc_lo, exec_lo, s3
                                        ; implicit-def: $sgpr6
	s_cbranch_vccz .LBB18_124
; %bb.122:                              ;   in Loop: Header=BB18_110 Depth=1
	s_and_not1_b32 vcc_lo, exec_lo, s8
	s_cbranch_vccz .LBB18_133
.LBB18_123:                             ;   in Loop: Header=BB18_110 Depth=1
	s_cmp_eq_u32 s6, s23
	s_cbranch_scc0 .LBB18_134
	s_branch .LBB18_136
.LBB18_124:                             ;   in Loop: Header=BB18_110 Depth=1
	s_add_i32 s6, s4, 1
	s_mov_b32 s8, exec_lo
	v_add_nc_u32_e32 v13, s6, v3
	s_delay_alu instid0(VALU_DEP_1)
	v_cmpx_gt_i32_e64 s23, v13
	s_cbranch_execz .LBB18_132
; %bb.125:                              ;   in Loop: Header=BB18_110 Depth=1
	v_mul_f32_e32 v9, v6, v6
	s_mov_b32 s9, 0
	s_delay_alu instid0(VALU_DEP_1) | instskip(SKIP_1) | instid1(VALU_DEP_1)
	v_fmac_f32_e32 v9, v5, v5
	s_waitcnt lgkmcnt(0)
	v_div_scale_f32 v7, null, v9, v9, 1.0
	s_delay_alu instid0(VALU_DEP_1) | instskip(SKIP_2) | instid1(VALU_DEP_1)
	v_rcp_f32_e32 v8, v7
	s_waitcnt_depctr 0xfff
	v_fma_f32 v14, -v7, v8, 1.0
	v_fmac_f32_e32 v8, v14, v8
	v_div_scale_f32 v15, vcc_lo, 1.0, v9, 1.0
	s_delay_alu instid0(VALU_DEP_1) | instskip(NEXT) | instid1(VALU_DEP_1)
	v_mul_f32_e32 v16, v15, v8
	v_fma_f32 v14, -v7, v16, v15
	s_delay_alu instid0(VALU_DEP_1) | instskip(SKIP_1) | instid1(VALU_DEP_2)
	v_fmac_f32_e32 v16, v14, v8
	v_add_nc_u32_e32 v14, s6, v12
	v_fma_f32 v7, -v7, v16, v15
	s_delay_alu instid0(VALU_DEP_1) | instskip(SKIP_1) | instid1(VALU_DEP_4)
	v_div_fmas_f32 v15, v7, v8, v16
	v_mad_u64_u32 v[7:8], null, 0x110, s4, v[4:5]
	v_cmp_gt_i32_e32 vcc_lo, s23, v14
	v_mov_b32_e32 v16, v10
	s_delay_alu instid0(VALU_DEP_4)
	v_div_fixup_f32 v15, v15, v9, 1.0
	s_branch .LBB18_127
.LBB18_126:                             ;   in Loop: Header=BB18_127 Depth=2
	s_or_b32 exec_lo, exec_lo, s10
	v_add_nc_u32_e32 v13, 32, v13
	v_add_nc_u32_e32 v16, 0x100, v16
	s_delay_alu instid0(VALU_DEP_2) | instskip(NEXT) | instid1(VALU_DEP_1)
	v_cmp_le_i32_e64 s3, s23, v13
	s_or_b32 s9, s3, s9
	s_delay_alu instid0(SALU_CYCLE_1)
	s_and_not1_b32 exec_lo, exec_lo, s9
	s_cbranch_execz .LBB18_132
.LBB18_127:                             ;   Parent Loop BB18_110 Depth=1
                                        ; =>  This Loop Header: Depth=2
                                        ;       Child Loop BB18_131 Depth 3
	v_lshl_add_u32 v17, v13, 3, s5
	ds_load_b64 v[8:9], v17
	s_waitcnt lgkmcnt(0)
	buffer_gl0_inv
	v_mul_f32_e64 v19, v6, -v8
	s_delay_alu instid0(VALU_DEP_1) | instskip(NEXT) | instid1(VALU_DEP_1)
	v_fmac_f32_e32 v19, v9, v5
	v_dual_mul_f32 v18, v6, v9 :: v_dual_mul_f32 v9, v15, v19
	s_delay_alu instid0(VALU_DEP_1) | instskip(NEXT) | instid1(VALU_DEP_1)
	v_fmac_f32_e32 v18, v8, v5
	v_mul_f32_e32 v8, v15, v18
	s_and_saveexec_b32 s3, s1
	s_cbranch_execz .LBB18_129
; %bb.128:                              ;   in Loop: Header=BB18_127 Depth=2
	ds_store_b64 v17, v[8:9]
.LBB18_129:                             ;   in Loop: Header=BB18_127 Depth=2
	s_or_b32 exec_lo, exec_lo, s3
	s_and_saveexec_b32 s10, vcc_lo
	s_cbranch_execz .LBB18_126
; %bb.130:                              ;   in Loop: Header=BB18_127 Depth=2
	v_dual_mov_b32 v17, v7 :: v_dual_mov_b32 v18, v14
	s_mov_b32 s11, 0
	.p2align	6
.LBB18_131:                             ;   Parent Loop BB18_110 Depth=1
                                        ;     Parent Loop BB18_127 Depth=2
                                        ; =>    This Inner Loop Header: Depth=3
	s_delay_alu instid0(VALU_DEP_1)
	v_add_nc_u32_e32 v23, v17, v16
	ds_load_b64 v[19:20], v17
	ds_load_b64 v[21:22], v23 offset:8
	v_add_nc_u32_e32 v17, 0x210, v17
	s_waitcnt lgkmcnt(0)
	v_fma_f32 v21, -v8, v19, v21
	v_add_nc_u32_e32 v18, 2, v18
	v_fma_f32 v19, -v9, v19, v22
	s_delay_alu instid0(VALU_DEP_3) | instskip(NEXT) | instid1(VALU_DEP_3)
	v_fmac_f32_e32 v21, v9, v20
	v_cmp_le_i32_e64 s3, s23, v18
	s_delay_alu instid0(VALU_DEP_3) | instskip(NEXT) | instid1(VALU_DEP_2)
	v_fma_f32 v22, -v8, v20, v19
	s_or_b32 s11, s3, s11
	ds_store_b64 v23, v[21:22] offset:8
	s_and_not1_b32 exec_lo, exec_lo, s11
	s_cbranch_execnz .LBB18_131
	s_branch .LBB18_126
.LBB18_132:                             ;   in Loop: Header=BB18_110 Depth=1
	s_or_b32 exec_lo, exec_lo, s8
	s_cbranch_execnz .LBB18_123
.LBB18_133:                             ;   in Loop: Header=BB18_110 Depth=1
	s_add_i32 s6, s4, 1
	s_mov_b32 s7, -1
	s_cmp_eq_u32 s6, s23
	s_cbranch_scc1 .LBB18_136
.LBB18_134:                             ;   in Loop: Header=BB18_110 Depth=1
	s_mov_b32 s4, s6
	s_branch .LBB18_110
.LBB18_135:                             ;   in Loop: Header=BB18_110 Depth=1
                                        ; implicit-def: $vgpr9
	s_branch .LBB18_115
.LBB18_136:
	s_waitcnt lgkmcnt(0)
	buffer_gl0_inv
	s_and_saveexec_b32 s2, s0
	s_cbranch_execz .LBB18_146
; %bb.137:
	s_mul_i32 s3, s28, s23
	v_bfe_u32 v4, v0, 10, 10
	v_add_nc_u32_e32 v1, s3, v3
	s_cmp_lg_u32 s30, 0
	s_mov_b32 s4, 0
	s_cselect_b32 s5, -1, 0
	v_cmp_gt_u32_e64 s0, s23, v4
	v_mul_lo_u32 v5, s23, v1
	v_mad_u32_u24 v6, 0x108, v4, v10
	s_lshl_b32 s6, s23, 5
	s_set_inst_prefetch_distance 0x1
	s_branch .LBB18_139
	.p2align	6
.LBB18_138:                             ;   in Loop: Header=BB18_139 Depth=1
	s_or_b32 exec_lo, exec_lo, s8
	v_add_nc_u32_e32 v3, 32, v3
	v_add_nc_u32_e32 v5, s6, v5
	;; [unrolled: 1-line block ×3, first 2 shown]
	s_delay_alu instid0(VALU_DEP_3) | instskip(SKIP_1) | instid1(SALU_CYCLE_1)
	v_cmp_le_i32_e32 vcc_lo, s23, v3
	s_or_b32 s4, vcc_lo, s4
	s_and_not1_b32 exec_lo, exec_lo, s4
	s_cbranch_execz .LBB18_146
.LBB18_139:                             ; =>This Loop Header: Depth=1
                                        ;     Child Loop BB18_142 Depth 2
	s_and_saveexec_b32 s8, s0
	s_cbranch_execz .LBB18_138
; %bb.140:                              ;   in Loop: Header=BB18_139 Depth=1
	v_dual_mov_b32 v7, v6 :: v_dual_mov_b32 v8, v4
	s_mov_b32 s9, 0
	s_branch .LBB18_142
	.p2align	6
.LBB18_141:                             ;   in Loop: Header=BB18_142 Depth=2
	ds_load_b64 v[9:10], v7
	v_ashrrev_i32_e32 v2, 31, v1
	v_add_nc_u32_e32 v8, 2, v8
	v_add_nc_u32_e32 v7, 0x210, v7
	s_delay_alu instid0(VALU_DEP_3) | instskip(NEXT) | instid1(VALU_DEP_3)
	v_lshlrev_b64 v[1:2], 3, v[1:2]
	v_cmp_le_i32_e32 vcc_lo, s23, v8
	s_or_b32 s9, vcc_lo, s9
	s_delay_alu instid0(VALU_DEP_2) | instskip(NEXT) | instid1(VALU_DEP_1)
	v_add_co_u32 v1, s1, s12, v1
	v_add_co_ci_u32_e64 v2, s1, s13, v2, s1
	s_waitcnt lgkmcnt(0)
	global_store_b64 v[1:2], v[9:10], off
	s_and_not1_b32 exec_lo, exec_lo, s9
	s_cbranch_execz .LBB18_138
.LBB18_142:                             ;   Parent Loop BB18_139 Depth=1
                                        ; =>  This Inner Loop Header: Depth=2
	s_and_b32 vcc_lo, exec_lo, s5
	s_cbranch_vccz .LBB18_144
; %bb.143:                              ;   in Loop: Header=BB18_142 Depth=2
	v_add_nc_u32_e32 v9, s3, v8
	s_delay_alu instid0(VALU_DEP_1)
	v_mad_u64_u32 v[1:2], null, v9, s23, v[3:4]
	s_cbranch_execnz .LBB18_141
	s_branch .LBB18_145
	.p2align	6
.LBB18_144:                             ;   in Loop: Header=BB18_142 Depth=2
                                        ; implicit-def: $vgpr1
.LBB18_145:                             ;   in Loop: Header=BB18_142 Depth=2
	v_add_nc_u32_e32 v1, v5, v8
	s_branch .LBB18_141
.LBB18_146:
	s_set_inst_prefetch_distance 0x2
	s_or_b32 exec_lo, exec_lo, s2
.LBB18_147:
	s_add_i32 s3, s28, 1
	s_delay_alu instid0(SALU_CYCLE_1)
	s_cmp_ge_i32 s3, s25
	s_cbranch_scc1 .LBB18_180
; %bb.148:
	v_and_b32_e32 v1, 0x3ff, v0
	v_bfe_u32 v5, v0, 10, 10
	s_cmp_lg_u32 s30, 0
	s_mul_i32 s6, s23, s23
	s_cselect_b32 s4, -1, 0
	v_mad_u64_u32 v[2:3], null, s23, s3, v[1:2]
	v_mul_u32_u24_e32 v3, 0x108, v5
	v_lshlrev_b32_e32 v4, 3, v1
	v_mul_u32_u24_e32 v9, 0x108, v1
	v_lshlrev_b32_e32 v10, 3, v5
	s_cmp_gt_i32 s23, 0
	v_cmp_gt_i32_e64 s0, s23, v1
	v_cmp_gt_i32_e64 s1, s23, v5
	v_add_nc_u32_e32 v6, 1, v5
	v_mul_lo_u32 v7, s23, v2
	v_add3_u32 v8, v3, v4, 0x2100
	v_add3_u32 v9, v10, v9, 0x2108
	v_add_nc_u32_e32 v10, 8, v10
	s_cselect_b32 s5, -1, 0
	s_lshl_b32 s8, s23, 5
.LBB18_149:                             ; =>This Loop Header: Depth=1
                                        ;     Child Loop BB18_152 Depth 2
                                        ;       Child Loop BB18_155 Depth 3
                                        ;     Child Loop BB18_162 Depth 2
                                        ;       Child Loop BB18_165 Depth 3
                                        ;         Child Loop BB18_167 Depth 4
                                        ;     Child Loop BB18_171 Depth 2
                                        ;       Child Loop BB18_174 Depth 3
	s_mul_i32 s9, s3, s23
	s_waitcnt lgkmcnt(0)
	s_waitcnt_vscnt null, 0x0
	buffer_gl0_inv
	s_and_saveexec_b32 s2, s0
	s_cbranch_execz .LBB18_159
; %bb.150:                              ;   in Loop: Header=BB18_149 Depth=1
	v_dual_mov_b32 v11, v8 :: v_dual_mov_b32 v12, v7
	v_mov_b32_e32 v2, v1
	s_mov_b32 s10, 0
	s_set_inst_prefetch_distance 0x1
	s_branch .LBB18_152
	.p2align	6
.LBB18_151:                             ;   in Loop: Header=BB18_152 Depth=2
	s_or_b32 exec_lo, exec_lo, s11
	v_add_nc_u32_e32 v2, 32, v2
	v_add_nc_u32_e32 v12, s8, v12
	;; [unrolled: 1-line block ×3, first 2 shown]
	s_delay_alu instid0(VALU_DEP_3) | instskip(SKIP_1) | instid1(SALU_CYCLE_1)
	v_cmp_le_i32_e32 vcc_lo, s23, v2
	s_or_b32 s10, vcc_lo, s10
	s_and_not1_b32 exec_lo, exec_lo, s10
	s_cbranch_execz .LBB18_159
.LBB18_152:                             ;   Parent Loop BB18_149 Depth=1
                                        ; =>  This Loop Header: Depth=2
                                        ;       Child Loop BB18_155 Depth 3
	s_and_saveexec_b32 s11, s1
	s_cbranch_execz .LBB18_151
; %bb.153:                              ;   in Loop: Header=BB18_152 Depth=2
	v_dual_mov_b32 v13, v11 :: v_dual_mov_b32 v14, v5
	s_mov_b32 s14, 0
	s_branch .LBB18_155
	.p2align	6
.LBB18_154:                             ;   in Loop: Header=BB18_155 Depth=3
	s_delay_alu instid0(VALU_DEP_1) | instskip(SKIP_1) | instid1(VALU_DEP_2)
	v_ashrrev_i32_e32 v4, 31, v3
	v_add_nc_u32_e32 v14, 2, v14
	v_lshlrev_b64 v[3:4], 3, v[3:4]
	s_delay_alu instid0(VALU_DEP_1) | instskip(NEXT) | instid1(VALU_DEP_2)
	v_add_co_u32 v3, vcc_lo, s12, v3
	v_add_co_ci_u32_e32 v4, vcc_lo, s13, v4, vcc_lo
	s_delay_alu instid0(VALU_DEP_4)
	v_cmp_le_i32_e32 vcc_lo, s23, v14
	global_load_b64 v[3:4], v[3:4], off
	s_or_b32 s14, vcc_lo, s14
	s_waitcnt vmcnt(0)
	ds_store_b64 v13, v[3:4]
	v_add_nc_u32_e32 v13, 0x210, v13
	s_and_not1_b32 exec_lo, exec_lo, s14
	s_cbranch_execz .LBB18_151
.LBB18_155:                             ;   Parent Loop BB18_149 Depth=1
                                        ;     Parent Loop BB18_152 Depth=2
                                        ; =>    This Inner Loop Header: Depth=3
	s_and_b32 vcc_lo, exec_lo, s4
	s_cbranch_vccz .LBB18_157
; %bb.156:                              ;   in Loop: Header=BB18_155 Depth=3
	v_add_nc_u32_e32 v15, s9, v14
	s_delay_alu instid0(VALU_DEP_1)
	v_mad_u64_u32 v[3:4], null, v15, s23, v[2:3]
	s_cbranch_execnz .LBB18_154
	s_branch .LBB18_158
	.p2align	6
.LBB18_157:                             ;   in Loop: Header=BB18_155 Depth=3
                                        ; implicit-def: $vgpr3
.LBB18_158:                             ;   in Loop: Header=BB18_155 Depth=3
	v_add_nc_u32_e32 v3, v12, v14
	s_branch .LBB18_154
.LBB18_159:                             ;   in Loop: Header=BB18_149 Depth=1
	s_set_inst_prefetch_distance 0x2
	s_or_b32 exec_lo, exec_lo, s2
	s_delay_alu instid0(SALU_CYCLE_1)
	s_and_not1_b32 vcc_lo, exec_lo, s5
	s_waitcnt lgkmcnt(0)
	buffer_gl0_inv
	s_cbranch_vccnz .LBB18_168
; %bb.160:                              ;   in Loop: Header=BB18_149 Depth=1
	v_dual_mov_b32 v2, v10 :: v_dual_mov_b32 v3, v9
	s_mov_b32 s10, 0
	s_branch .LBB18_162
.LBB18_161:                             ;   in Loop: Header=BB18_162 Depth=2
	s_set_inst_prefetch_distance 0x2
	s_or_b32 exec_lo, exec_lo, s11
	v_add_nc_u32_e32 v3, 8, v3
	v_add_nc_u32_e32 v2, 0x110, v2
	s_add_i32 s10, s10, 1
	s_delay_alu instid0(SALU_CYCLE_1)
	s_cmp_eq_u32 s10, s23
	s_cbranch_scc1 .LBB18_168
.LBB18_162:                             ;   Parent Loop BB18_149 Depth=1
                                        ; =>  This Loop Header: Depth=2
                                        ;       Child Loop BB18_165 Depth 3
                                        ;         Child Loop BB18_167 Depth 4
	s_and_saveexec_b32 s11, s0
	s_cbranch_execz .LBB18_161
; %bb.163:                              ;   in Loop: Header=BB18_162 Depth=2
	v_dual_mov_b32 v11, v3 :: v_dual_add_nc_u32 v4, s10, v6
	v_mov_b32_e32 v12, v1
	s_mov_b32 s14, 0
	s_lshl_b32 s15, s10, 3
	s_delay_alu instid0(VALU_DEP_2)
	v_cmp_gt_i32_e32 vcc_lo, s23, v4
	s_set_inst_prefetch_distance 0x1
	s_branch .LBB18_165
	.p2align	6
.LBB18_164:                             ;   in Loop: Header=BB18_165 Depth=3
	s_or_b32 exec_lo, exec_lo, s16
	v_add_nc_u32_e32 v12, 32, v12
	v_add_nc_u32_e32 v11, 0x2100, v11
	s_delay_alu instid0(VALU_DEP_2) | instskip(NEXT) | instid1(VALU_DEP_1)
	v_cmp_le_i32_e64 s2, s23, v12
	s_or_b32 s14, s2, s14
	s_delay_alu instid0(SALU_CYCLE_1)
	s_and_not1_b32 exec_lo, exec_lo, s14
	s_cbranch_execz .LBB18_161
.LBB18_165:                             ;   Parent Loop BB18_149 Depth=1
                                        ;     Parent Loop BB18_162 Depth=2
                                        ; =>    This Loop Header: Depth=3
                                        ;         Child Loop BB18_167 Depth 4
	s_and_saveexec_b32 s16, vcc_lo
	s_cbranch_execz .LBB18_164
; %bb.166:                              ;   in Loop: Header=BB18_165 Depth=3
	v_mul_lo_u32 v15, 0x108, v12
	v_dual_mov_b32 v13, v2 :: v_dual_mov_b32 v14, v11
	v_mov_b32_e32 v16, v4
	s_mov_b32 s17, 0
	s_delay_alu instid0(VALU_DEP_3)
	v_add3_u32 v15, 0x2100, s15, v15
	.p2align	6
.LBB18_167:                             ;   Parent Loop BB18_149 Depth=1
                                        ;     Parent Loop BB18_162 Depth=2
                                        ;       Parent Loop BB18_165 Depth=3
                                        ; =>      This Inner Loop Header: Depth=4
	ds_load_b64 v[17:18], v13
	ds_load_b64 v[19:20], v15
	;; [unrolled: 1-line block ×3, first 2 shown]
	v_add_nc_u32_e32 v16, 2, v16
	v_add_nc_u32_e32 v13, 16, v13
	s_delay_alu instid0(VALU_DEP_2) | instskip(NEXT) | instid1(VALU_DEP_1)
	v_cmp_le_i32_e64 s2, s23, v16
	s_or_b32 s17, s2, s17
	s_waitcnt lgkmcnt(0)
	v_fma_f32 v21, -v17, v19, v21
	v_fma_f32 v19, -v18, v19, v22
	s_delay_alu instid0(VALU_DEP_2) | instskip(NEXT) | instid1(VALU_DEP_2)
	v_fmac_f32_e32 v21, v18, v20
	v_fma_f32 v22, -v17, v20, v19
	ds_store_b64 v14, v[21:22]
	v_add_nc_u32_e32 v14, 16, v14
	s_and_not1_b32 exec_lo, exec_lo, s17
	s_cbranch_execnz .LBB18_167
	s_branch .LBB18_164
.LBB18_168:                             ;   in Loop: Header=BB18_149 Depth=1
	s_waitcnt lgkmcnt(0)
	buffer_gl0_inv
	s_and_saveexec_b32 s10, s0
	s_cbranch_execz .LBB18_178
; %bb.169:                              ;   in Loop: Header=BB18_149 Depth=1
	v_dual_mov_b32 v11, v8 :: v_dual_mov_b32 v12, v7
	v_mov_b32_e32 v2, v1
	s_mov_b32 s11, 0
	s_set_inst_prefetch_distance 0x1
	s_branch .LBB18_171
	.p2align	6
.LBB18_170:                             ;   in Loop: Header=BB18_171 Depth=2
	s_or_b32 exec_lo, exec_lo, s14
	v_add_nc_u32_e32 v2, 32, v2
	v_add_nc_u32_e32 v12, s8, v12
	;; [unrolled: 1-line block ×3, first 2 shown]
	s_delay_alu instid0(VALU_DEP_3) | instskip(SKIP_1) | instid1(SALU_CYCLE_1)
	v_cmp_le_i32_e32 vcc_lo, s23, v2
	s_or_b32 s11, vcc_lo, s11
	s_and_not1_b32 exec_lo, exec_lo, s11
	s_cbranch_execz .LBB18_178
.LBB18_171:                             ;   Parent Loop BB18_149 Depth=1
                                        ; =>  This Loop Header: Depth=2
                                        ;       Child Loop BB18_174 Depth 3
	s_and_saveexec_b32 s14, s1
	s_cbranch_execz .LBB18_170
; %bb.172:                              ;   in Loop: Header=BB18_171 Depth=2
	v_dual_mov_b32 v13, v11 :: v_dual_mov_b32 v14, v5
	s_mov_b32 s15, 0
	s_branch .LBB18_174
	.p2align	6
.LBB18_173:                             ;   in Loop: Header=BB18_174 Depth=3
	ds_load_b64 v[15:16], v13
	v_ashrrev_i32_e32 v4, 31, v3
	v_add_nc_u32_e32 v14, 2, v14
	v_add_nc_u32_e32 v13, 0x210, v13
	s_delay_alu instid0(VALU_DEP_3) | instskip(NEXT) | instid1(VALU_DEP_3)
	v_lshlrev_b64 v[3:4], 3, v[3:4]
	v_cmp_le_i32_e32 vcc_lo, s23, v14
	s_or_b32 s15, vcc_lo, s15
	s_delay_alu instid0(VALU_DEP_2) | instskip(NEXT) | instid1(VALU_DEP_1)
	v_add_co_u32 v3, s2, s12, v3
	v_add_co_ci_u32_e64 v4, s2, s13, v4, s2
	s_waitcnt lgkmcnt(0)
	global_store_b64 v[3:4], v[15:16], off
	s_and_not1_b32 exec_lo, exec_lo, s15
	s_cbranch_execz .LBB18_170
.LBB18_174:                             ;   Parent Loop BB18_149 Depth=1
                                        ;     Parent Loop BB18_171 Depth=2
                                        ; =>    This Inner Loop Header: Depth=3
	s_and_b32 vcc_lo, exec_lo, s4
	s_cbranch_vccz .LBB18_176
; %bb.175:                              ;   in Loop: Header=BB18_174 Depth=3
	v_add_nc_u32_e32 v15, s9, v14
	s_delay_alu instid0(VALU_DEP_1)
	v_mad_u64_u32 v[3:4], null, v15, s23, v[2:3]
	s_cbranch_execnz .LBB18_173
	s_branch .LBB18_177
	.p2align	6
.LBB18_176:                             ;   in Loop: Header=BB18_174 Depth=3
                                        ; implicit-def: $vgpr3
.LBB18_177:                             ;   in Loop: Header=BB18_174 Depth=3
	v_add_nc_u32_e32 v3, v12, v14
	s_branch .LBB18_173
.LBB18_178:                             ;   in Loop: Header=BB18_149 Depth=1
	s_set_inst_prefetch_distance 0x2
	s_or_b32 exec_lo, exec_lo, s10
; %bb.179:                              ;   in Loop: Header=BB18_149 Depth=1
	v_add_nc_u32_e32 v7, s6, v7
	s_add_i32 s3, s3, 1
	s_delay_alu instid0(SALU_CYCLE_1)
	s_cmp_ge_i32 s3, s25
	s_cbranch_scc0 .LBB18_149
.LBB18_180:
	s_waitcnt vmcnt(0)
	v_and_b32_e32 v1, 0x3ff, v0
	v_bfe_u32 v0, v0, 10, 10
	s_mov_b32 s0, exec_lo
	s_delay_alu instid0(VALU_DEP_1) | instskip(NEXT) | instid1(VALU_DEP_1)
	v_or_b32_e32 v0, v1, v0
	v_cmpx_eq_u32_e32 0, v0
	s_cbranch_execz .LBB18_184
; %bb.181:
	v_dual_mov_b32 v0, 0 :: v_dual_mov_b32 v1, 1
	s_add_u32 s0, s20, s26
	s_addc_u32 s1, s21, s27
	s_and_not1_b32 vcc_lo, exec_lo, s7
	s_waitcnt_vscnt null, 0x0
	global_store_b32 v0, v1, s[0:1]
	s_cbranch_vccnz .LBB18_184
; %bb.182:
	v_mbcnt_lo_u32_b32 v0, exec_lo, 0
	s_delay_alu instid0(VALU_DEP_1)
	v_cmp_eq_u32_e32 vcc_lo, 0, v0
	s_and_b32 exec_lo, exec_lo, vcc_lo
	s_cbranch_execz .LBB18_184
; %bb.183:
	s_add_i32 s0, s22, s24
	s_delay_alu instid0(SALU_CYCLE_1)
	v_dual_mov_b32 v0, 0 :: v_dual_mov_b32 v1, s0
	global_atomic_min_i32 v0, v1, s[18:19]
.LBB18_184:
	s_nop 0
	s_sendmsg sendmsg(MSG_DEALLOC_VGPRS)
	s_endpgm
	.section	.rodata,"a",@progbits
	.p2align	6, 0x0
	.amdhsa_kernel _ZN9rocsparseL12bsrilu0_9_32ILj64ELj64ELj32E21rocsparse_complex_numIfEEEv20rocsparse_direction_iPKiS5_PT2_S5_iPiS5_S8_21rocsparse_index_base_imNS_24const_host_device_scalarIfEENSA_IdEENSA_IS6_EEb
		.amdhsa_group_segment_fixed_size 16896
		.amdhsa_private_segment_fixed_size 0
		.amdhsa_kernarg_size 116
		.amdhsa_user_sgpr_count 15
		.amdhsa_user_sgpr_dispatch_ptr 0
		.amdhsa_user_sgpr_queue_ptr 0
		.amdhsa_user_sgpr_kernarg_segment_ptr 1
		.amdhsa_user_sgpr_dispatch_id 0
		.amdhsa_user_sgpr_private_segment_size 0
		.amdhsa_wavefront_size32 1
		.amdhsa_uses_dynamic_stack 0
		.amdhsa_enable_private_segment 0
		.amdhsa_system_sgpr_workgroup_id_x 1
		.amdhsa_system_sgpr_workgroup_id_y 0
		.amdhsa_system_sgpr_workgroup_id_z 0
		.amdhsa_system_sgpr_workgroup_info 0
		.amdhsa_system_vgpr_workitem_id 1
		.amdhsa_next_free_vgpr 36
		.amdhsa_next_free_sgpr 49
		.amdhsa_reserve_vcc 1
		.amdhsa_float_round_mode_32 0
		.amdhsa_float_round_mode_16_64 0
		.amdhsa_float_denorm_mode_32 3
		.amdhsa_float_denorm_mode_16_64 3
		.amdhsa_dx10_clamp 1
		.amdhsa_ieee_mode 1
		.amdhsa_fp16_overflow 0
		.amdhsa_workgroup_processor_mode 1
		.amdhsa_memory_ordered 1
		.amdhsa_forward_progress 0
		.amdhsa_shared_vgpr_count 0
		.amdhsa_exception_fp_ieee_invalid_op 0
		.amdhsa_exception_fp_denorm_src 0
		.amdhsa_exception_fp_ieee_div_zero 0
		.amdhsa_exception_fp_ieee_overflow 0
		.amdhsa_exception_fp_ieee_underflow 0
		.amdhsa_exception_fp_ieee_inexact 0
		.amdhsa_exception_int_div_zero 0
	.end_amdhsa_kernel
	.section	.text._ZN9rocsparseL12bsrilu0_9_32ILj64ELj64ELj32E21rocsparse_complex_numIfEEEv20rocsparse_direction_iPKiS5_PT2_S5_iPiS5_S8_21rocsparse_index_base_imNS_24const_host_device_scalarIfEENSA_IdEENSA_IS6_EEb,"axG",@progbits,_ZN9rocsparseL12bsrilu0_9_32ILj64ELj64ELj32E21rocsparse_complex_numIfEEEv20rocsparse_direction_iPKiS5_PT2_S5_iPiS5_S8_21rocsparse_index_base_imNS_24const_host_device_scalarIfEENSA_IdEENSA_IS6_EEb,comdat
.Lfunc_end18:
	.size	_ZN9rocsparseL12bsrilu0_9_32ILj64ELj64ELj32E21rocsparse_complex_numIfEEEv20rocsparse_direction_iPKiS5_PT2_S5_iPiS5_S8_21rocsparse_index_base_imNS_24const_host_device_scalarIfEENSA_IdEENSA_IS6_EEb, .Lfunc_end18-_ZN9rocsparseL12bsrilu0_9_32ILj64ELj64ELj32E21rocsparse_complex_numIfEEEv20rocsparse_direction_iPKiS5_PT2_S5_iPiS5_S8_21rocsparse_index_base_imNS_24const_host_device_scalarIfEENSA_IdEENSA_IS6_EEb
                                        ; -- End function
	.section	.AMDGPU.csdata,"",@progbits
; Kernel info:
; codeLenInByte = 6104
; NumSgprs: 51
; NumVgprs: 36
; ScratchSize: 0
; MemoryBound: 0
; FloatMode: 240
; IeeeMode: 1
; LDSByteSize: 16896 bytes/workgroup (compile time only)
; SGPRBlocks: 6
; VGPRBlocks: 4
; NumSGPRsForWavesPerEU: 51
; NumVGPRsForWavesPerEU: 36
; Occupancy: 4
; WaveLimiterHint : 1
; COMPUTE_PGM_RSRC2:SCRATCH_EN: 0
; COMPUTE_PGM_RSRC2:USER_SGPR: 15
; COMPUTE_PGM_RSRC2:TRAP_HANDLER: 0
; COMPUTE_PGM_RSRC2:TGID_X_EN: 1
; COMPUTE_PGM_RSRC2:TGID_Y_EN: 0
; COMPUTE_PGM_RSRC2:TGID_Z_EN: 0
; COMPUTE_PGM_RSRC2:TIDIG_COMP_CNT: 1
	.section	.text._ZN9rocsparseL13bsrilu0_33_64ILj64ELj64ELj64E21rocsparse_complex_numIfEEEv20rocsparse_direction_iPKiS5_PT2_S5_iPiS5_S8_21rocsparse_index_base_imNS_24const_host_device_scalarIfEENSA_IdEENSA_IS6_EEb,"axG",@progbits,_ZN9rocsparseL13bsrilu0_33_64ILj64ELj64ELj64E21rocsparse_complex_numIfEEEv20rocsparse_direction_iPKiS5_PT2_S5_iPiS5_S8_21rocsparse_index_base_imNS_24const_host_device_scalarIfEENSA_IdEENSA_IS6_EEb,comdat
	.globl	_ZN9rocsparseL13bsrilu0_33_64ILj64ELj64ELj64E21rocsparse_complex_numIfEEEv20rocsparse_direction_iPKiS5_PT2_S5_iPiS5_S8_21rocsparse_index_base_imNS_24const_host_device_scalarIfEENSA_IdEENSA_IS6_EEb ; -- Begin function _ZN9rocsparseL13bsrilu0_33_64ILj64ELj64ELj64E21rocsparse_complex_numIfEEEv20rocsparse_direction_iPKiS5_PT2_S5_iPiS5_S8_21rocsparse_index_base_imNS_24const_host_device_scalarIfEENSA_IdEENSA_IS6_EEb
	.p2align	8
	.type	_ZN9rocsparseL13bsrilu0_33_64ILj64ELj64ELj64E21rocsparse_complex_numIfEEEv20rocsparse_direction_iPKiS5_PT2_S5_iPiS5_S8_21rocsparse_index_base_imNS_24const_host_device_scalarIfEENSA_IdEENSA_IS6_EEb,@function
_ZN9rocsparseL13bsrilu0_33_64ILj64ELj64ELj64E21rocsparse_complex_numIfEEEv20rocsparse_direction_iPKiS5_PT2_S5_iPiS5_S8_21rocsparse_index_base_imNS_24const_host_device_scalarIfEENSA_IdEENSA_IS6_EEb: ; @_ZN9rocsparseL13bsrilu0_33_64ILj64ELj64ELj64E21rocsparse_complex_numIfEEEv20rocsparse_direction_iPKiS5_PT2_S5_iPiS5_S8_21rocsparse_index_base_imNS_24const_host_device_scalarIfEENSA_IdEENSA_IS6_EEb
; %bb.0:
	s_clause 0x2
	s_load_b32 s2, s[0:1], 0x70
	s_load_b64 s[24:25], s[0:1], 0x48
	s_load_b256 s[16:23], s[0:1], 0x50
	s_mov_b32 s6, s15
	s_waitcnt lgkmcnt(0)
	s_bitcmp1_b32 s2, 0
	s_cselect_b32 s4, -1, 0
	s_cmp_lg_u32 s25, 0
	s_cselect_b32 s5, -1, 0
	s_cmp_eq_u32 s25, 0
	s_cselect_b32 s8, -1, 0
	s_delay_alu instid0(SALU_CYCLE_1) | instskip(SKIP_3) | instid1(SALU_CYCLE_1)
	s_and_b32 s2, s8, exec_lo
	s_cselect_b32 s2, 0, s20
	s_cselect_b32 s3, 0, s21
	s_or_b32 s7, s8, s4
	s_and_b32 vcc_lo, exec_lo, s7
	s_xor_b32 s7, s7, -1
	s_cbranch_vccnz .LBB19_2
; %bb.1:
	s_load_b32 s2, s[18:19], 0x0
	s_waitcnt lgkmcnt(0)
	v_mov_b32_e32 v19, s2
	s_mov_b64 s[2:3], s[20:21]
	s_delay_alu instid0(SALU_CYCLE_1)
	v_dual_mov_b32 v1, s2 :: v_dual_mov_b32 v2, s3
	s_and_not1_b32 vcc_lo, exec_lo, s7
	s_cbranch_vccz .LBB19_3
	s_branch .LBB19_4
.LBB19_2:
	v_cndmask_b32_e64 v19, s18, 0, s8
	v_dual_mov_b32 v1, s2 :: v_dual_mov_b32 v2, s3
	s_and_not1_b32 vcc_lo, exec_lo, s7
	s_cbranch_vccnz .LBB19_4
.LBB19_3:
	v_dual_mov_b32 v1, s20 :: v_dual_mov_b32 v2, s21
	flat_load_b64 v[1:2], v[1:2]
.LBB19_4:
	v_cndmask_b32_e64 v18, 0, 1, s5
	s_mov_b32 s29, 0
	s_and_not1_b32 vcc_lo, exec_lo, s5
	s_mov_b32 s25, s29
	s_cbranch_vccnz .LBB19_10
; %bb.5:
	s_xor_b32 s2, s4, -1
	s_mov_b32 s25, s22
	v_cndmask_b32_e64 v3, 0, 1, s2
	s_and_not1_b32 vcc_lo, exec_lo, s2
	s_cbranch_vccnz .LBB19_7
; %bb.6:
	s_load_b32 s25, s[22:23], 0x0
.LBB19_7:
	s_delay_alu instid0(VALU_DEP_1)
	v_cmp_ne_u32_e32 vcc_lo, 1, v3
	s_cbranch_vccnz .LBB19_9
; %bb.8:
	s_load_b32 s23, s[22:23], 0x4
.LBB19_9:
	s_waitcnt lgkmcnt(0)
	s_mov_b32 s29, s23
.LBB19_10:
	s_clause 0x1
	s_load_b128 s[20:23], s[0:1], 0x30
	s_load_b64 s[18:19], s[0:1], 0x40
	s_mov_b32 s7, 0
	s_delay_alu instid0(SALU_CYCLE_1)
	s_lshl_b64 s[2:3], s[6:7], 2
	s_waitcnt lgkmcnt(0)
	s_add_u32 s2, s22, s2
	s_addc_u32 s3, s23, s3
	s_load_b32 s22, s[2:3], 0x0
	s_load_b256 s[8:15], s[0:1], 0x8
	s_waitcnt lgkmcnt(0)
	s_ashr_i32 s23, s22, 31
	s_delay_alu instid0(SALU_CYCLE_1) | instskip(NEXT) | instid1(SALU_CYCLE_1)
	s_lshl_b64 s[26:27], s[22:23], 2
	s_add_u32 s2, s14, s26
	s_addc_u32 s3, s15, s27
	s_load_b32 s30, s[2:3], 0x0
	s_waitcnt lgkmcnt(0)
	s_cmp_eq_u32 s30, -1
	s_cbranch_scc1 .LBB19_104
; %bb.11:
	s_add_u32 s2, s8, s26
	s_addc_u32 s3, s9, s27
	s_load_b64 s[2:3], s[2:3], 0x0
	s_clause 0x1
	s_load_b64 s[34:35], s[0:1], 0x0
	s_load_b32 s28, s[0:1], 0x28
	s_waitcnt lgkmcnt(0)
	s_sub_i32 s36, s2, s24
	s_sub_i32 s23, s3, s24
	s_cmp_ge_i32 s36, s30
	s_cbranch_scc1 .LBB19_93
; %bb.12:
	v_and_b32_e32 v3, 0x3ff, v0
	v_bfe_u32 v20, v0, 10, 10
	s_cmp_lg_u32 s34, 0
	s_mov_b32 s38, 0
	s_cselect_b32 s31, -1, 0
	v_lshlrev_b32_e32 v9, 3, v3
	v_lshl_or_b32 v4, v20, 6, v3
	v_add_nc_u32_e32 v21, 1, v20
	s_cmp_gt_i32 s28, 0
	v_cmp_gt_i32_e64 s0, s28, v3
	s_delay_alu instid0(VALU_DEP_3)
	v_dual_mov_b32 v27, 0 :: v_dual_add_nc_u32 v4, s36, v4
	s_cselect_b32 s33, -1, 0
	s_add_i32 s35, s35, 1
	v_cmp_le_i32_e64 s1, s28, v3
	v_cmp_gt_i32_e64 s2, s28, v20
	v_mad_u64_u32 v[6:7], null, s28, s36, v[3:4]
	v_ashrrev_i32_e32 v5, 31, v4
	v_cmp_eq_u32_e64 s3, 0, v20
	s_add_u32 s39, s8, 4
	v_cmp_gt_i32_e64 s4, s23, v4
	v_mul_u32_u24_e32 v23, 0x208, v20
	v_lshlrev_b64 v[7:8], 2, v[4:5]
	v_mul_lo_u32 v22, s28, v6
	v_mad_u32_u24 v24, 0x208, v20, v9
	v_mad_u32_u24 v26, 0x208, v20, 0x208
	s_addc_u32 s40, s9, 0
	s_add_u32 s41, s10, 0x100
	v_add_co_u32 v5, vcc_lo, s10, v7
	v_add_co_ci_u32_e32 v6, vcc_lo, s11, v8, vcc_lo
	v_add_nc_u32_e32 v25, v21, v22
	s_addc_u32 s42, s11, 0
	s_lshl_b32 s43, s28, 6
	s_mul_i32 s44, s28, s28
.LBB19_13:                              ; =>This Loop Header: Depth=1
                                        ;     Child Loop BB19_15 Depth 2
                                        ;     Child Loop BB19_19 Depth 2
                                        ;       Child Loop BB19_22 Depth 3
                                        ;     Child Loop BB19_29 Depth 2
                                        ;       Child Loop BB19_32 Depth 3
                                        ;         Child Loop BB19_43 Depth 4
                                        ;     Child Loop BB19_54 Depth 2
                                        ;       Child Loop BB19_59 Depth 3
                                        ;       Child Loop BB19_68 Depth 3
                                        ;         Child Loop BB19_71 Depth 4
                                        ;       Child Loop BB19_77 Depth 3
                                        ;         Child Loop BB19_80 Depth 4
                                        ;           Child Loop BB19_82 Depth 5
	s_ashr_i32 s37, s36, 31
	s_delay_alu instid0(SALU_CYCLE_1) | instskip(NEXT) | instid1(SALU_CYCLE_1)
	s_lshl_b64 s[6:7], s[36:37], 2
	s_add_u32 s6, s10, s6
	s_addc_u32 s7, s11, s7
	global_load_b32 v7, v27, s[6:7]
	s_waitcnt vmcnt(0)
	v_readfirstlane_b32 s5, v7
	s_delay_alu instid0(VALU_DEP_1) | instskip(NEXT) | instid1(SALU_CYCLE_1)
	s_sub_i32 s6, s5, s24
	s_ashr_i32 s7, s6, 31
	s_delay_alu instid0(SALU_CYCLE_1) | instskip(NEXT) | instid1(SALU_CYCLE_1)
	s_lshl_b64 s[8:9], s[6:7], 2
	s_add_u32 s6, s14, s8
	s_addc_u32 s7, s15, s9
	global_load_b32 v7, v27, s[6:7]
	s_mov_b32 s7, -1
	s_waitcnt vmcnt(0)
	v_cmp_eq_u32_e32 vcc_lo, -1, v7
	v_readfirstlane_b32 s37, v7
	v_cmp_ne_u32_e64 s5, -1, v7
	s_cbranch_vccnz .LBB19_91
; %bb.14:                               ;   in Loop: Header=BB19_13 Depth=1
	s_add_u32 s6, s39, s8
	s_addc_u32 s7, s40, s9
	global_load_b32 v7, v27, s[6:7]
	s_add_u32 s6, s20, s8
	s_addc_u32 s7, s21, s9
	s_waitcnt vmcnt(0)
	v_readfirstlane_b32 s45, v7
.LBB19_15:                              ;   Parent Loop BB19_13 Depth=1
                                        ; =>  This Inner Loop Header: Depth=2
	global_load_b32 v7, v27, s[6:7] glc
	s_waitcnt vmcnt(0)
	v_cmp_eq_u32_e32 vcc_lo, 0, v7
	s_cbranch_vccnz .LBB19_15
; %bb.16:                               ;   in Loop: Header=BB19_13 Depth=1
	buffer_gl1_inv
	buffer_gl0_inv
	s_and_saveexec_b32 s6, s0
	s_cbranch_execz .LBB19_26
; %bb.17:                               ;   in Loop: Header=BB19_13 Depth=1
	s_mul_i32 s7, s37, s28
	s_waitcnt lgkmcnt(0)
	v_mov_b32_e32 v11, v24
	v_add_nc_u32_e32 v7, s7, v3
	s_mov_b32 s8, 0
	s_delay_alu instid0(VALU_DEP_1)
	v_mul_lo_u32 v10, s28, v7
	v_mov_b32_e32 v7, v3
	s_set_inst_prefetch_distance 0x1
	s_branch .LBB19_19
	.p2align	6
.LBB19_18:                              ;   in Loop: Header=BB19_19 Depth=2
	s_or_b32 exec_lo, exec_lo, s9
	v_add_nc_u32_e32 v7, 64, v7
	v_add_nc_u32_e32 v10, s43, v10
	;; [unrolled: 1-line block ×3, first 2 shown]
	s_delay_alu instid0(VALU_DEP_3) | instskip(SKIP_1) | instid1(SALU_CYCLE_1)
	v_cmp_le_i32_e32 vcc_lo, s28, v7
	s_or_b32 s8, vcc_lo, s8
	s_and_not1_b32 exec_lo, exec_lo, s8
	s_cbranch_execz .LBB19_26
.LBB19_19:                              ;   Parent Loop BB19_13 Depth=1
                                        ; =>  This Loop Header: Depth=2
                                        ;       Child Loop BB19_22 Depth 3
	s_and_saveexec_b32 s9, s2
	s_cbranch_execz .LBB19_18
; %bb.20:                               ;   in Loop: Header=BB19_19 Depth=2
	v_dual_mov_b32 v12, v11 :: v_dual_mov_b32 v13, v20
	s_mov_b32 s46, 0
	s_branch .LBB19_22
	.p2align	6
.LBB19_21:                              ;   in Loop: Header=BB19_22 Depth=3
	s_delay_alu instid0(VALU_DEP_1) | instskip(SKIP_1) | instid1(VALU_DEP_2)
	v_ashrrev_i32_e32 v9, 31, v8
	v_add_nc_u32_e32 v13, 1, v13
	v_lshlrev_b64 v[8:9], 3, v[8:9]
	s_delay_alu instid0(VALU_DEP_1) | instskip(NEXT) | instid1(VALU_DEP_2)
	v_add_co_u32 v8, vcc_lo, s12, v8
	v_add_co_ci_u32_e32 v9, vcc_lo, s13, v9, vcc_lo
	s_delay_alu instid0(VALU_DEP_4)
	v_cmp_le_i32_e32 vcc_lo, s28, v13
	global_load_b64 v[8:9], v[8:9], off
	s_or_b32 s46, vcc_lo, s46
	s_waitcnt vmcnt(0)
	ds_store_b64 v12, v[8:9]
	v_add_nc_u32_e32 v12, 0x208, v12
	s_and_not1_b32 exec_lo, exec_lo, s46
	s_cbranch_execz .LBB19_18
.LBB19_22:                              ;   Parent Loop BB19_13 Depth=1
                                        ;     Parent Loop BB19_19 Depth=2
                                        ; =>    This Inner Loop Header: Depth=3
	s_and_b32 vcc_lo, exec_lo, s31
	s_cbranch_vccz .LBB19_24
; %bb.23:                               ;   in Loop: Header=BB19_22 Depth=3
	v_add_nc_u32_e32 v14, s7, v13
	s_delay_alu instid0(VALU_DEP_1)
	v_mad_u64_u32 v[8:9], null, v14, s28, v[7:8]
	s_cbranch_execnz .LBB19_21
	s_branch .LBB19_25
	.p2align	6
.LBB19_24:                              ;   in Loop: Header=BB19_22 Depth=3
                                        ; implicit-def: $vgpr8
.LBB19_25:                              ;   in Loop: Header=BB19_22 Depth=3
	v_add_nc_u32_e32 v8, v10, v13
	s_branch .LBB19_21
.LBB19_26:                              ;   in Loop: Header=BB19_13 Depth=1
	s_set_inst_prefetch_distance 0x2
	s_or_b32 exec_lo, exec_lo, s6
	s_delay_alu instid0(SALU_CYCLE_1)
	s_and_not1_b32 vcc_lo, exec_lo, s33
	s_mul_i32 s9, s36, s28
	s_waitcnt lgkmcnt(0)
	buffer_gl0_inv
	s_cbranch_vccnz .LBB19_49
; %bb.27:                               ;   in Loop: Header=BB19_13 Depth=1
	v_dual_mov_b32 v28, v26 :: v_dual_mov_b32 v29, v25
	s_mov_b32 s8, 0
	s_branch .LBB19_29
.LBB19_28:                              ;   in Loop: Header=BB19_29 Depth=2
	s_or_b32 exec_lo, exec_lo, s46
	v_add_nc_u32_e32 v29, 1, v29
	v_add_nc_u32_e32 v28, 0x210, v28
	s_add_i32 s8, s8, 1
	s_delay_alu instid0(SALU_CYCLE_1)
	s_cmp_eq_u32 s8, s28
	s_cbranch_scc1 .LBB19_49
.LBB19_29:                              ;   Parent Loop BB19_13 Depth=1
                                        ; =>  This Loop Header: Depth=2
                                        ;       Child Loop BB19_32 Depth 3
                                        ;         Child Loop BB19_43 Depth 4
	s_and_saveexec_b32 s46, s0
	s_cbranch_execz .LBB19_28
; %bb.30:                               ;   in Loop: Header=BB19_29 Depth=2
	s_lshl_b32 s6, s8, 3
	s_mul_i32 s7, s8, 0x208
	v_mov_b32_e32 v31, v29
	s_add_i32 s6, s7, s6
	s_add_i32 s47, s8, s9
	v_mov_b32_e32 v7, s6
	s_mul_i32 s47, s47, s28
	s_mov_b32 s48, 0
	v_add_nc_u32_e32 v30, s8, v21
	ds_load_b64 v[7:8], v7
	v_cmp_gt_i32_e64 s6, s28, v30
	s_waitcnt lgkmcnt(0)
	v_mul_f32_e32 v9, v8, v8
	s_delay_alu instid0(VALU_DEP_1) | instskip(NEXT) | instid1(VALU_DEP_1)
	v_fmac_f32_e32 v9, v7, v7
	v_div_scale_f32 v10, null, v9, v9, 1.0
	v_div_scale_f32 v13, vcc_lo, 1.0, v9, 1.0
	s_delay_alu instid0(VALU_DEP_2) | instskip(SKIP_2) | instid1(VALU_DEP_1)
	v_rcp_f32_e32 v11, v10
	s_waitcnt_depctr 0xfff
	v_fma_f32 v12, -v10, v11, 1.0
	v_fmac_f32_e32 v11, v12, v11
	s_delay_alu instid0(VALU_DEP_1) | instskip(NEXT) | instid1(VALU_DEP_1)
	v_mul_f32_e32 v12, v13, v11
	v_fma_f32 v14, -v10, v12, v13
	s_delay_alu instid0(VALU_DEP_1) | instskip(NEXT) | instid1(VALU_DEP_1)
	v_fmac_f32_e32 v12, v14, v11
	v_fma_f32 v10, -v10, v12, v13
	s_delay_alu instid0(VALU_DEP_1) | instskip(NEXT) | instid1(VALU_DEP_1)
	v_div_fmas_f32 v10, v10, v11, v12
	v_div_fixup_f32 v32, v10, v9, 1.0
	v_mov_b32_e32 v9, v3
	s_branch .LBB19_32
.LBB19_31:                              ;   in Loop: Header=BB19_32 Depth=3
	s_set_inst_prefetch_distance 0x2
	s_or_b32 exec_lo, exec_lo, s49
	v_add_nc_u32_e32 v9, 64, v9
	v_add_nc_u32_e32 v31, s43, v31
	s_delay_alu instid0(VALU_DEP_2) | instskip(SKIP_1) | instid1(SALU_CYCLE_1)
	v_cmp_le_i32_e32 vcc_lo, s28, v9
	s_or_b32 s48, vcc_lo, s48
	s_and_not1_b32 exec_lo, exec_lo, s48
	s_cbranch_execz .LBB19_28
.LBB19_32:                              ;   Parent Loop BB19_13 Depth=1
                                        ;     Parent Loop BB19_29 Depth=2
                                        ; =>    This Loop Header: Depth=3
                                        ;         Child Loop BB19_43 Depth 4
	s_and_b32 vcc_lo, exec_lo, s31
	s_cbranch_vccz .LBB19_47
; %bb.33:                               ;   in Loop: Header=BB19_32 Depth=3
	s_delay_alu instid0(VALU_DEP_1)
	v_add_nc_u32_e32 v10, s47, v9
	s_cbranch_execnz .LBB19_35
.LBB19_34:                              ;   in Loop: Header=BB19_32 Depth=3
	v_add_nc_u32_e32 v12, s9, v9
	s_delay_alu instid0(VALU_DEP_1)
	v_mad_u64_u32 v[10:11], null, v12, s28, s[8:9]
.LBB19_35:                              ;   in Loop: Header=BB19_32 Depth=3
	s_delay_alu instid0(VALU_DEP_1) | instskip(NEXT) | instid1(VALU_DEP_1)
	v_ashrrev_i32_e32 v11, 31, v10
	v_lshlrev_b64 v[10:11], 3, v[10:11]
	s_delay_alu instid0(VALU_DEP_1) | instskip(NEXT) | instid1(VALU_DEP_2)
	v_add_co_u32 v10, vcc_lo, s12, v10
	v_add_co_ci_u32_e32 v11, vcc_lo, s13, v11, vcc_lo
	global_load_b64 v[10:11], v[10:11], off
	s_waitcnt vmcnt(0)
	v_mul_f32_e32 v12, v8, v11
	v_mul_f32_e64 v13, v8, -v10
	s_delay_alu instid0(VALU_DEP_1) | instskip(NEXT) | instid1(VALU_DEP_1)
	v_fmac_f32_e32 v13, v11, v7
	v_dual_fmac_f32 v12, v10, v7 :: v_dual_mul_f32 v11, v32, v13
	s_delay_alu instid0(VALU_DEP_1)
	v_mul_f32_e32 v10, v32, v12
	s_and_saveexec_b32 s7, s3
	s_cbranch_execz .LBB19_40
; %bb.36:                               ;   in Loop: Header=BB19_32 Depth=3
	s_and_b32 vcc_lo, exec_lo, s31
	s_cbranch_vccz .LBB19_48
; %bb.37:                               ;   in Loop: Header=BB19_32 Depth=3
	v_add_nc_u32_e32 v12, s47, v9
	s_cbranch_execnz .LBB19_39
.LBB19_38:                              ;   in Loop: Header=BB19_32 Depth=3
	v_add_nc_u32_e32 v14, s9, v9
	s_delay_alu instid0(VALU_DEP_1)
	v_mad_u64_u32 v[12:13], null, v14, s28, s[8:9]
.LBB19_39:                              ;   in Loop: Header=BB19_32 Depth=3
	s_delay_alu instid0(VALU_DEP_1) | instskip(NEXT) | instid1(VALU_DEP_1)
	v_ashrrev_i32_e32 v13, 31, v12
	v_lshlrev_b64 v[12:13], 3, v[12:13]
	s_delay_alu instid0(VALU_DEP_1) | instskip(NEXT) | instid1(VALU_DEP_2)
	v_add_co_u32 v12, vcc_lo, s12, v12
	v_add_co_ci_u32_e32 v13, vcc_lo, s13, v13, vcc_lo
	global_store_b64 v[12:13], v[10:11], off
.LBB19_40:                              ;   in Loop: Header=BB19_32 Depth=3
	s_or_b32 exec_lo, exec_lo, s7
	s_and_saveexec_b32 s49, s6
	s_cbranch_execz .LBB19_31
; %bb.41:                               ;   in Loop: Header=BB19_32 Depth=3
	v_dual_mov_b32 v33, v28 :: v_dual_mov_b32 v34, v31
	v_mov_b32_e32 v35, v30
	s_mov_b32 s50, 0
	s_set_inst_prefetch_distance 0x1
	s_branch .LBB19_43
	.p2align	6
.LBB19_42:                              ;   in Loop: Header=BB19_43 Depth=4
	s_delay_alu instid0(VALU_DEP_1)
	v_ashrrev_i32_e32 v15, 31, v14
	s_waitcnt vmcnt(0) lgkmcnt(0)
	v_fma_f32 v16, -v10, v12, v16
	v_fma_f32 v12, -v11, v12, v17
	v_add_nc_u32_e32 v35, 1, v35
	v_add_nc_u32_e32 v34, 1, v34
	v_lshlrev_b64 v[14:15], 3, v[14:15]
	v_fmac_f32_e32 v16, v11, v13
	v_fma_f32 v17, -v10, v13, v12
	v_cmp_le_i32_e32 vcc_lo, s28, v35
	v_add_nc_u32_e32 v33, 0x208, v33
	v_add_co_u32 v12, s7, s12, v14
	s_delay_alu instid0(VALU_DEP_1)
	v_add_co_ci_u32_e64 v13, s7, s13, v15, s7
	s_or_b32 s50, vcc_lo, s50
	global_store_b64 v[12:13], v[16:17], off
	s_and_not1_b32 exec_lo, exec_lo, s50
	s_cbranch_execz .LBB19_31
.LBB19_43:                              ;   Parent Loop BB19_13 Depth=1
                                        ;     Parent Loop BB19_29 Depth=2
                                        ;       Parent Loop BB19_32 Depth=3
                                        ; =>      This Inner Loop Header: Depth=4
	ds_load_b64 v[12:13], v33
	v_add_nc_u32_e32 v36, s9, v35
	v_mov_b32_e32 v14, v34
	s_and_not1_b32 vcc_lo, exec_lo, s31
	s_cbranch_vccnz .LBB19_45
; %bb.44:                               ;   in Loop: Header=BB19_43 Depth=4
	s_delay_alu instid0(VALU_DEP_2)
	v_mad_u64_u32 v[14:15], null, v36, s28, v[9:10]
.LBB19_45:                              ;   in Loop: Header=BB19_43 Depth=4
	s_delay_alu instid0(VALU_DEP_1) | instskip(NEXT) | instid1(VALU_DEP_1)
	v_ashrrev_i32_e32 v15, 31, v14
	v_lshlrev_b64 v[14:15], 3, v[14:15]
	s_delay_alu instid0(VALU_DEP_1) | instskip(NEXT) | instid1(VALU_DEP_2)
	v_add_co_u32 v14, vcc_lo, s12, v14
	v_add_co_ci_u32_e32 v15, vcc_lo, s13, v15, vcc_lo
	s_and_not1_b32 vcc_lo, exec_lo, s31
	global_load_b64 v[16:17], v[14:15], off
	v_mov_b32_e32 v14, v34
	s_cbranch_vccnz .LBB19_42
; %bb.46:                               ;   in Loop: Header=BB19_43 Depth=4
	v_mad_u64_u32 v[14:15], null, v36, s28, v[9:10]
	s_branch .LBB19_42
.LBB19_47:                              ;   in Loop: Header=BB19_32 Depth=3
                                        ; implicit-def: $vgpr10
	s_branch .LBB19_34
.LBB19_48:                              ;   in Loop: Header=BB19_32 Depth=3
                                        ; implicit-def: $vgpr12
	s_branch .LBB19_38
.LBB19_49:                              ;   in Loop: Header=BB19_13 Depth=1
	s_sub_i32 s8, s45, s24
	s_add_i32 s6, s37, 1
	s_waitcnt_vscnt null, 0x0
	buffer_gl0_inv
	s_cmp_ge_i32 s6, s8
	s_cbranch_scc1 .LBB19_90
; %bb.50:                               ;   in Loop: Header=BB19_13 Depth=1
	v_mad_u64_u32 v[7:8], null, s28, s6, v[3:4]
	s_delay_alu instid0(VALU_DEP_1)
	v_mul_lo_u32 v10, s28, v7
	s_branch .LBB19_54
.LBB19_51:                              ;   in Loop: Header=BB19_54 Depth=2
	s_or_b32 exec_lo, exec_lo, s37
.LBB19_52:                              ;   in Loop: Header=BB19_54 Depth=2
	s_delay_alu instid0(SALU_CYCLE_1)
	s_or_b32 exec_lo, exec_lo, s7
.LBB19_53:                              ;   in Loop: Header=BB19_54 Depth=2
	v_add_nc_u32_e32 v10, s44, v10
	s_add_i32 s6, s6, 1
	s_delay_alu instid0(SALU_CYCLE_1)
	s_cmp_lt_i32 s6, s8
	s_cbranch_scc0 .LBB19_90
.LBB19_54:                              ;   Parent Loop BB19_13 Depth=1
                                        ; =>  This Loop Header: Depth=2
                                        ;       Child Loop BB19_59 Depth 3
                                        ;       Child Loop BB19_68 Depth 3
                                        ;         Child Loop BB19_71 Depth 4
                                        ;       Child Loop BB19_77 Depth 3
                                        ;         Child Loop BB19_80 Depth 4
                                        ;           Child Loop BB19_82 Depth 5
	s_ashr_i32 s7, s6, 31
	v_mov_b32_e32 v8, s35
	s_lshl_b64 s[46:47], s[6:7], 2
	s_delay_alu instid0(SALU_CYCLE_1)
	s_add_u32 s46, s10, s46
	s_addc_u32 s47, s11, s47
	global_load_b32 v7, v27, s[46:47]
	s_and_saveexec_b32 s7, s4
	s_cbranch_execz .LBB19_56
; %bb.55:                               ;   in Loop: Header=BB19_54 Depth=2
	global_load_b32 v8, v[5:6], off
	s_waitcnt vmcnt(0)
	v_subrev_nc_u32_e32 v8, s24, v8
.LBB19_56:                              ;   in Loop: Header=BB19_54 Depth=2
	s_or_b32 exec_lo, exec_lo, s7
	s_waitcnt vmcnt(0)
	v_subrev_nc_u32_e32 v9, s24, v7
	s_waitcnt lgkmcnt(0)
	v_mov_b32_e32 v11, v4
	s_mov_b32 s7, exec_lo
	s_delay_alu instid0(VALU_DEP_2)
	v_cmpx_lt_i32_e64 v8, v9
	s_cbranch_execz .LBB19_62
; %bb.57:                               ;   in Loop: Header=BB19_54 Depth=2
	v_mov_b32_e32 v7, v4
	s_mov_b32 s37, 0
	s_branch .LBB19_59
	.p2align	6
.LBB19_58:                              ;   in Loop: Header=BB19_59 Depth=3
	s_or_b32 exec_lo, exec_lo, s45
	s_delay_alu instid0(VALU_DEP_1) | instskip(SKIP_2) | instid1(SALU_CYCLE_1)
	v_cmp_ge_i32_e32 vcc_lo, v8, v9
	v_mov_b32_e32 v7, v11
	s_or_b32 s37, vcc_lo, s37
	s_and_not1_b32 exec_lo, exec_lo, s37
	s_cbranch_execz .LBB19_61
.LBB19_59:                              ;   Parent Loop BB19_13 Depth=1
                                        ;     Parent Loop BB19_54 Depth=2
                                        ; =>    This Inner Loop Header: Depth=3
	s_delay_alu instid0(VALU_DEP_1) | instskip(SKIP_1) | instid1(VALU_DEP_1)
	v_dual_mov_b32 v8, s35 :: v_dual_add_nc_u32 v11, 64, v7
	s_mov_b32 s45, exec_lo
	v_cmpx_gt_i32_e64 s23, v11
	s_cbranch_execz .LBB19_58
; %bb.60:                               ;   in Loop: Header=BB19_59 Depth=3
	v_ashrrev_i32_e32 v8, 31, v7
	s_delay_alu instid0(VALU_DEP_1) | instskip(NEXT) | instid1(VALU_DEP_1)
	v_lshlrev_b64 v[7:8], 2, v[7:8]
	v_add_co_u32 v7, vcc_lo, s41, v7
	s_delay_alu instid0(VALU_DEP_2)
	v_add_co_ci_u32_e32 v8, vcc_lo, s42, v8, vcc_lo
	global_load_b32 v7, v[7:8], off
	s_waitcnt vmcnt(0)
	v_subrev_nc_u32_e32 v8, s24, v7
	s_branch .LBB19_58
.LBB19_61:                              ;   in Loop: Header=BB19_54 Depth=2
	s_or_b32 exec_lo, exec_lo, s37
.LBB19_62:                              ;   in Loop: Header=BB19_54 Depth=2
	s_delay_alu instid0(SALU_CYCLE_1)
	s_or_b32 exec_lo, exec_lo, s7
	v_cmp_eq_u32_e32 vcc_lo, v8, v9
	s_cbranch_vccz .LBB19_53
; %bb.63:                               ;   in Loop: Header=BB19_54 Depth=2
	s_ctz_i32_b32 s7, vcc_lo
	s_delay_alu instid0(SALU_CYCLE_1) | instskip(NEXT) | instid1(SALU_CYCLE_1)
	s_lshl_b32 s7, s7, 2
	v_mov_b32_e32 v7, s7
	ds_bpermute_b32 v11, v7, v11
	s_and_saveexec_b32 s7, s1
	s_delay_alu instid0(SALU_CYCLE_1)
	s_xor_b32 s7, exec_lo, s7
	s_cbranch_execz .LBB19_65
; %bb.64:                               ;   in Loop: Header=BB19_54 Depth=2
	s_waitcnt lgkmcnt(0)
	buffer_gl0_inv
                                        ; implicit-def: $vgpr11
.LBB19_65:                              ;   in Loop: Header=BB19_54 Depth=2
	s_and_not1_saveexec_b32 s7, s7
	s_cbranch_execz .LBB19_52
; %bb.66:                               ;   in Loop: Header=BB19_54 Depth=2
	v_dual_mov_b32 v12, v24 :: v_dual_mov_b32 v13, v10
	v_mov_b32_e32 v7, v3
	s_mul_i32 s45, s6, s28
	s_mov_b32 s37, 0
	s_set_inst_prefetch_distance 0x1
	s_branch .LBB19_68
	.p2align	6
.LBB19_67:                              ;   in Loop: Header=BB19_68 Depth=3
	s_or_b32 exec_lo, exec_lo, s46
	v_add_nc_u32_e32 v7, 64, v7
	v_add_nc_u32_e32 v13, s43, v13
	;; [unrolled: 1-line block ×3, first 2 shown]
	s_delay_alu instid0(VALU_DEP_3) | instskip(SKIP_1) | instid1(SALU_CYCLE_1)
	v_cmp_le_i32_e32 vcc_lo, s28, v7
	s_or_b32 s37, vcc_lo, s37
	s_and_not1_b32 exec_lo, exec_lo, s37
	s_cbranch_execz .LBB19_75
.LBB19_68:                              ;   Parent Loop BB19_13 Depth=1
                                        ;     Parent Loop BB19_54 Depth=2
                                        ; =>    This Loop Header: Depth=3
                                        ;         Child Loop BB19_71 Depth 4
	s_and_saveexec_b32 s46, s2
	s_cbranch_execz .LBB19_67
; %bb.69:                               ;   in Loop: Header=BB19_68 Depth=3
	v_mov_b32_e32 v14, v12
	v_mov_b32_e32 v15, v20
	s_mov_b32 s47, 0
	s_branch .LBB19_71
	.p2align	6
.LBB19_70:                              ;   in Loop: Header=BB19_71 Depth=4
	s_delay_alu instid0(VALU_DEP_1) | instskip(SKIP_1) | instid1(VALU_DEP_2)
	v_ashrrev_i32_e32 v9, 31, v8
	v_add_nc_u32_e32 v15, 1, v15
	v_lshlrev_b64 v[8:9], 3, v[8:9]
	s_delay_alu instid0(VALU_DEP_1) | instskip(NEXT) | instid1(VALU_DEP_2)
	v_add_co_u32 v8, vcc_lo, s12, v8
	v_add_co_ci_u32_e32 v9, vcc_lo, s13, v9, vcc_lo
	s_delay_alu instid0(VALU_DEP_4)
	v_cmp_le_i32_e32 vcc_lo, s28, v15
	global_load_b64 v[8:9], v[8:9], off
	s_or_b32 s47, vcc_lo, s47
	s_waitcnt vmcnt(0)
	ds_store_b64 v14, v[8:9]
	v_add_nc_u32_e32 v14, 0x208, v14
	s_and_not1_b32 exec_lo, exec_lo, s47
	s_cbranch_execz .LBB19_67
.LBB19_71:                              ;   Parent Loop BB19_13 Depth=1
                                        ;     Parent Loop BB19_54 Depth=2
                                        ;       Parent Loop BB19_68 Depth=3
                                        ; =>      This Inner Loop Header: Depth=4
	s_and_b32 vcc_lo, exec_lo, s31
	s_cbranch_vccz .LBB19_73
; %bb.72:                               ;   in Loop: Header=BB19_71 Depth=4
	v_add_nc_u32_e32 v16, s45, v15
	s_delay_alu instid0(VALU_DEP_1)
	v_mad_u64_u32 v[8:9], null, v16, s28, v[7:8]
	s_cbranch_execnz .LBB19_70
	s_branch .LBB19_74
	.p2align	6
.LBB19_73:                              ;   in Loop: Header=BB19_71 Depth=4
                                        ; implicit-def: $vgpr8
.LBB19_74:                              ;   in Loop: Header=BB19_71 Depth=4
	v_add_nc_u32_e32 v8, v13, v15
	s_branch .LBB19_70
.LBB19_75:                              ;   in Loop: Header=BB19_54 Depth=2
	s_set_inst_prefetch_distance 0x2
	s_or_b32 exec_lo, exec_lo, s37
	s_waitcnt lgkmcnt(0)
	v_mul_lo_u32 v11, v11, s28
	v_dual_mov_b32 v12, v22 :: v_dual_mov_b32 v7, v3
	s_mov_b32 s37, 0
	buffer_gl0_inv
	s_branch .LBB19_77
.LBB19_76:                              ;   in Loop: Header=BB19_77 Depth=3
	s_or_b32 exec_lo, exec_lo, s45
	v_add_nc_u32_e32 v7, 64, v7
	v_add_nc_u32_e32 v12, s43, v12
	s_delay_alu instid0(VALU_DEP_2) | instskip(SKIP_1) | instid1(SALU_CYCLE_1)
	v_cmp_le_i32_e32 vcc_lo, s28, v7
	s_or_b32 s37, vcc_lo, s37
	s_and_not1_b32 exec_lo, exec_lo, s37
	s_cbranch_execz .LBB19_51
.LBB19_77:                              ;   Parent Loop BB19_13 Depth=1
                                        ;     Parent Loop BB19_54 Depth=2
                                        ; =>    This Loop Header: Depth=3
                                        ;         Child Loop BB19_80 Depth 4
                                        ;           Child Loop BB19_82 Depth 5
	s_and_saveexec_b32 s45, s2
	s_cbranch_execz .LBB19_76
; %bb.78:                               ;   in Loop: Header=BB19_77 Depth=3
	v_dual_mov_b32 v15, v20 :: v_dual_add_nc_u32 v8, v7, v11
	v_mov_b32_e32 v14, v23
	s_mov_b32 s46, 0
	s_delay_alu instid0(VALU_DEP_2)
	v_mul_lo_u32 v13, v8, s28
	s_branch .LBB19_80
.LBB19_79:                              ;   in Loop: Header=BB19_80 Depth=4
	s_delay_alu instid0(VALU_DEP_1) | instskip(SKIP_1) | instid1(VALU_DEP_2)
	v_ashrrev_i32_e32 v9, 31, v8
	v_add_nc_u32_e32 v14, 0x208, v14
	v_lshlrev_b64 v[8:9], 3, v[8:9]
	s_delay_alu instid0(VALU_DEP_1) | instskip(NEXT) | instid1(VALU_DEP_2)
	v_add_co_u32 v8, vcc_lo, s12, v8
	v_add_co_ci_u32_e32 v9, vcc_lo, s13, v9, vcc_lo
	global_load_b64 v[28:29], v[8:9], off
	s_waitcnt vmcnt(0)
	v_dual_sub_f32 v16, v28, v16 :: v_dual_add_nc_u32 v15, 1, v15
	s_delay_alu instid0(VALU_DEP_1)
	v_cmp_le_i32_e32 vcc_lo, s28, v15
	v_sub_f32_e32 v17, v29, v17
	s_or_b32 s46, vcc_lo, s46
	global_store_b64 v[8:9], v[16:17], off
	s_and_not1_b32 exec_lo, exec_lo, s46
	s_cbranch_execz .LBB19_76
.LBB19_80:                              ;   Parent Loop BB19_13 Depth=1
                                        ;     Parent Loop BB19_54 Depth=2
                                        ;       Parent Loop BB19_77 Depth=3
                                        ; =>      This Loop Header: Depth=4
                                        ;           Child Loop BB19_82 Depth 5
	v_dual_mov_b32 v16, 0 :: v_dual_mov_b32 v17, 0
	v_mov_b32_e32 v28, v14
	s_mov_b32 s47, 0
	s_set_inst_prefetch_distance 0x1
	s_branch .LBB19_82
	.p2align	6
.LBB19_81:                              ;   in Loop: Header=BB19_82 Depth=5
	s_delay_alu instid0(VALU_DEP_1)
	v_ashrrev_i32_e32 v9, 31, v8
	ds_load_b64 v[29:30], v28
	s_add_i32 s47, s47, 1
	v_add_nc_u32_e32 v28, 8, v28
	s_cmp_eq_u32 s28, s47
	v_lshlrev_b64 v[8:9], 3, v[8:9]
	s_delay_alu instid0(VALU_DEP_1) | instskip(NEXT) | instid1(VALU_DEP_2)
	v_add_co_u32 v8, vcc_lo, s12, v8
	v_add_co_ci_u32_e32 v9, vcc_lo, s13, v9, vcc_lo
	global_load_b64 v[8:9], v[8:9], off
	s_waitcnt vmcnt(0) lgkmcnt(0)
	v_fmac_f32_e32 v16, v8, v29
	v_fmac_f32_e32 v17, v9, v29
	s_delay_alu instid0(VALU_DEP_2) | instskip(NEXT) | instid1(VALU_DEP_2)
	v_fma_f32 v16, -v9, v30, v16
	v_fmac_f32_e32 v17, v8, v30
	s_cbranch_scc1 .LBB19_86
.LBB19_82:                              ;   Parent Loop BB19_13 Depth=1
                                        ;     Parent Loop BB19_54 Depth=2
                                        ;       Parent Loop BB19_77 Depth=3
                                        ;         Parent Loop BB19_80 Depth=4
                                        ; =>        This Inner Loop Header: Depth=5
	s_and_b32 vcc_lo, exec_lo, s31
	s_cbranch_vccz .LBB19_84
; %bb.83:                               ;   in Loop: Header=BB19_82 Depth=5
	s_add_i32 s48, s47, s9
	s_delay_alu instid0(SALU_CYCLE_1)
	v_mad_u64_u32 v[8:9], null, s48, s28, v[7:8]
	s_cbranch_execnz .LBB19_81
	s_branch .LBB19_85
	.p2align	6
.LBB19_84:                              ;   in Loop: Header=BB19_82 Depth=5
                                        ; implicit-def: $vgpr8
.LBB19_85:                              ;   in Loop: Header=BB19_82 Depth=5
	v_add_nc_u32_e32 v8, s47, v12
	s_branch .LBB19_81
.LBB19_86:                              ;   in Loop: Header=BB19_80 Depth=4
	s_set_inst_prefetch_distance 0x2
	s_and_b32 vcc_lo, exec_lo, s31
	s_cbranch_vccz .LBB19_88
; %bb.87:                               ;   in Loop: Header=BB19_80 Depth=4
	v_add_nc_u32_e32 v28, v15, v11
	s_delay_alu instid0(VALU_DEP_1)
	v_mad_u64_u32 v[8:9], null, v28, s28, v[7:8]
	s_cbranch_execnz .LBB19_79
	s_branch .LBB19_89
.LBB19_88:                              ;   in Loop: Header=BB19_80 Depth=4
                                        ; implicit-def: $vgpr8
.LBB19_89:                              ;   in Loop: Header=BB19_80 Depth=4
	v_add_nc_u32_e32 v8, v15, v13
	s_branch .LBB19_79
.LBB19_90:                              ;   in Loop: Header=BB19_13 Depth=1
	s_mov_b32 s7, s38
.LBB19_91:                              ;   in Loop: Header=BB19_13 Depth=1
	s_add_i32 s36, s36, 1
	v_add_nc_u32_e32 v25, s44, v25
	s_cmp_lt_i32 s36, s30
	v_add_nc_u32_e32 v22, s44, v22
	s_cselect_b32 s6, -1, 0
	s_delay_alu instid0(SALU_CYCLE_1) | instskip(NEXT) | instid1(SALU_CYCLE_1)
	s_and_b32 s5, s5, s6
	s_and_b32 vcc_lo, exec_lo, s5
	s_cbranch_vccz .LBB19_93
; %bb.92:                               ;   in Loop: Header=BB19_13 Depth=1
	s_mov_b32 s38, s7
	s_branch .LBB19_13
.LBB19_93:
	s_ashr_i32 s31, s30, 31
	v_mov_b32_e32 v3, 0
	s_lshl_b64 s[0:1], s[30:31], 2
	s_waitcnt vmcnt(0) lgkmcnt(0)
	s_waitcnt_vscnt null, 0x0
	buffer_gl0_inv
	s_add_u32 s0, s10, s0
	s_addc_u32 s1, s11, s1
	global_load_b32 v3, v3, s[0:1]
	s_waitcnt vmcnt(0)
	v_subrev_nc_u32_e32 v3, s24, v3
	s_delay_alu instid0(VALU_DEP_1)
	v_cmp_ne_u32_e32 vcc_lo, s22, v3
	s_cbranch_vccnz .LBB19_144
; %bb.94:
	v_and_b32_e32 v3, 0x3ff, v0
	s_delay_alu instid0(VALU_DEP_1) | instskip(SKIP_1) | instid1(VALU_DEP_2)
	v_cmp_gt_i32_e64 s0, s28, v3
	v_lshlrev_b32_e32 v10, 3, v3
	s_and_saveexec_b32 s2, s0
	s_cbranch_execz .LBB19_105
; %bb.95:
	s_mul_i32 s3, s30, s28
	v_bfe_u32 v7, v0, 10, 10
	v_add_nc_u32_e32 v4, s3, v3
	v_lshlrev_b32_e32 v5, 3, v3
	s_cmp_lg_u32 s34, 0
	s_mov_b32 s4, 0
	v_cmp_gt_u32_e64 s1, s28, v7
	v_mul_lo_u32 v8, s28, v4
	v_mov_b32_e32 v4, v3
	v_mad_u32_u24 v9, 0x208, v7, v5
	s_cselect_b32 s5, -1, 0
	s_lshl_b32 s6, s28, 6
	s_set_inst_prefetch_distance 0x1
	s_branch .LBB19_97
	.p2align	6
.LBB19_96:                              ;   in Loop: Header=BB19_97 Depth=1
	s_or_b32 exec_lo, exec_lo, s8
	v_add_nc_u32_e32 v4, 64, v4
	v_add_nc_u32_e32 v8, s6, v8
	;; [unrolled: 1-line block ×3, first 2 shown]
	s_delay_alu instid0(VALU_DEP_3) | instskip(SKIP_1) | instid1(SALU_CYCLE_1)
	v_cmp_le_i32_e32 vcc_lo, s28, v4
	s_or_b32 s4, vcc_lo, s4
	s_and_not1_b32 exec_lo, exec_lo, s4
	s_cbranch_execz .LBB19_105
.LBB19_97:                              ; =>This Loop Header: Depth=1
                                        ;     Child Loop BB19_100 Depth 2
	s_and_saveexec_b32 s8, s1
	s_cbranch_execz .LBB19_96
; %bb.98:                               ;   in Loop: Header=BB19_97 Depth=1
	v_dual_mov_b32 v11, v9 :: v_dual_mov_b32 v12, v7
	s_mov_b32 s9, 0
	s_branch .LBB19_100
	.p2align	6
.LBB19_99:                              ;   in Loop: Header=BB19_100 Depth=2
	s_delay_alu instid0(VALU_DEP_1) | instskip(SKIP_1) | instid1(VALU_DEP_2)
	v_ashrrev_i32_e32 v6, 31, v5
	v_add_nc_u32_e32 v12, 1, v12
	v_lshlrev_b64 v[5:6], 3, v[5:6]
	s_delay_alu instid0(VALU_DEP_1) | instskip(NEXT) | instid1(VALU_DEP_2)
	v_add_co_u32 v5, vcc_lo, s12, v5
	v_add_co_ci_u32_e32 v6, vcc_lo, s13, v6, vcc_lo
	s_delay_alu instid0(VALU_DEP_4)
	v_cmp_le_i32_e32 vcc_lo, s28, v12
	global_load_b64 v[5:6], v[5:6], off
	s_or_b32 s9, vcc_lo, s9
	s_waitcnt vmcnt(0)
	ds_store_b64 v11, v[5:6]
	v_add_nc_u32_e32 v11, 0x208, v11
	s_and_not1_b32 exec_lo, exec_lo, s9
	s_cbranch_execz .LBB19_96
.LBB19_100:                             ;   Parent Loop BB19_97 Depth=1
                                        ; =>  This Inner Loop Header: Depth=2
	s_and_b32 vcc_lo, exec_lo, s5
	s_cbranch_vccz .LBB19_102
; %bb.101:                              ;   in Loop: Header=BB19_100 Depth=2
	v_add_nc_u32_e32 v13, s3, v12
	s_delay_alu instid0(VALU_DEP_1)
	v_mad_u64_u32 v[5:6], null, v13, s28, v[4:5]
	s_cbranch_execnz .LBB19_99
	s_branch .LBB19_103
	.p2align	6
.LBB19_102:                             ;   in Loop: Header=BB19_100 Depth=2
                                        ; implicit-def: $vgpr5
.LBB19_103:                             ;   in Loop: Header=BB19_100 Depth=2
	v_add_nc_u32_e32 v5, v8, v12
	s_branch .LBB19_99
.LBB19_104:
	s_mov_b32 s7, -1
	s_branch .LBB19_179
.LBB19_105:
	s_set_inst_prefetch_distance 0x2
	s_or_b32 exec_lo, exec_lo, s2
	s_cmp_lt_i32 s28, 1
	s_waitcnt lgkmcnt(0)
	buffer_gl0_inv
	s_cbranch_scc1 .LBB19_133
; %bb.106:
	v_cvt_f64_f32_e32 v[4:5], v19
	v_bfe_u32 v11, v0, 10, 10
	s_cmp_eq_u64 s[16:17], 8
	s_mov_b32 s4, 0
	s_cselect_b32 vcc_lo, -1, 0
	s_delay_alu instid0(VALU_DEP_1) | instskip(SKIP_1) | instid1(VALU_DEP_2)
	v_or_b32_e32 v6, v3, v11
	v_cmp_eq_u32_e64 s1, 0, v11
	v_cmp_eq_u32_e64 s2, 0, v6
	v_dual_cndmask_b32 v2, v5, v2 :: v_dual_cndmask_b32 v1, v4, v1
	v_mad_u32_u24 v4, 0x208, v11, 0x208
.LBB19_107:                             ; =>This Loop Header: Depth=1
                                        ;     Child Loop BB19_124 Depth 2
                                        ;       Child Loop BB19_128 Depth 3
	s_lshl_b32 s3, s4, 3
	s_mul_i32 s5, s4, 0x208
	v_cmp_ne_u32_e32 vcc_lo, 1, v18
	s_add_i32 s6, s5, s3
	s_delay_alu instid0(SALU_CYCLE_1)
	v_mov_b32_e32 v5, s6
	s_waitcnt lgkmcnt(0)
	ds_load_b64 v[7:8], v5
	s_cbranch_vccnz .LBB19_116
; %bb.108:                              ;   in Loop: Header=BB19_107 Depth=1
	s_waitcnt lgkmcnt(0)
	v_cmp_gt_f32_e32 vcc_lo, 0, v7
	v_cndmask_b32_e64 v5, v7, -v7, vcc_lo
	v_cmp_gt_f32_e32 vcc_lo, 0, v8
	v_cndmask_b32_e64 v6, v8, -v8, vcc_lo
	s_delay_alu instid0(VALU_DEP_1)
	v_cmp_ngt_f32_e32 vcc_lo, v5, v6
	s_cbranch_vccz .LBB19_132
; %bb.109:                              ;   in Loop: Header=BB19_107 Depth=1
	v_cmp_eq_f32_e32 vcc_lo, 0, v8
	v_mov_b32_e32 v9, 0
	s_mov_b32 s8, 0
	s_cbranch_vccnz .LBB19_111
; %bb.110:                              ;   in Loop: Header=BB19_107 Depth=1
	v_div_scale_f32 v9, null, v6, v6, v5
	v_div_scale_f32 v14, vcc_lo, v5, v6, v5
	s_delay_alu instid0(VALU_DEP_2) | instskip(SKIP_2) | instid1(VALU_DEP_1)
	v_rcp_f32_e32 v12, v9
	s_waitcnt_depctr 0xfff
	v_fma_f32 v13, -v9, v12, 1.0
	v_fmac_f32_e32 v12, v13, v12
	s_delay_alu instid0(VALU_DEP_1) | instskip(NEXT) | instid1(VALU_DEP_1)
	v_mul_f32_e32 v13, v14, v12
	v_fma_f32 v15, -v9, v13, v14
	s_delay_alu instid0(VALU_DEP_1) | instskip(NEXT) | instid1(VALU_DEP_1)
	v_fmac_f32_e32 v13, v15, v12
	v_fma_f32 v9, -v9, v13, v14
	s_delay_alu instid0(VALU_DEP_1) | instskip(NEXT) | instid1(VALU_DEP_1)
	v_div_fmas_f32 v9, v9, v12, v13
	v_div_fixup_f32 v9, v9, v6, v5
	s_delay_alu instid0(VALU_DEP_1) | instskip(NEXT) | instid1(VALU_DEP_1)
	v_fma_f32 v9, v9, v9, 1.0
	v_mul_f32_e32 v12, 0x4f800000, v9
	v_cmp_gt_f32_e32 vcc_lo, 0xf800000, v9
	s_delay_alu instid0(VALU_DEP_2) | instskip(NEXT) | instid1(VALU_DEP_1)
	v_cndmask_b32_e32 v9, v9, v12, vcc_lo
	v_sqrt_f32_e32 v12, v9
	s_waitcnt_depctr 0xfff
	v_add_nc_u32_e32 v13, -1, v12
	v_add_nc_u32_e32 v14, 1, v12
	s_delay_alu instid0(VALU_DEP_2) | instskip(NEXT) | instid1(VALU_DEP_2)
	v_fma_f32 v15, -v13, v12, v9
	v_fma_f32 v16, -v14, v12, v9
	s_delay_alu instid0(VALU_DEP_2) | instskip(NEXT) | instid1(VALU_DEP_1)
	v_cmp_ge_f32_e64 s3, 0, v15
	v_cndmask_b32_e64 v12, v12, v13, s3
	s_delay_alu instid0(VALU_DEP_3) | instskip(NEXT) | instid1(VALU_DEP_1)
	v_cmp_lt_f32_e64 s3, 0, v16
	v_cndmask_b32_e64 v12, v12, v14, s3
	s_delay_alu instid0(VALU_DEP_1) | instskip(NEXT) | instid1(VALU_DEP_1)
	v_mul_f32_e32 v13, 0x37800000, v12
	v_cndmask_b32_e32 v12, v12, v13, vcc_lo
	v_cmp_class_f32_e64 vcc_lo, v9, 0x260
	s_delay_alu instid0(VALU_DEP_2) | instskip(NEXT) | instid1(VALU_DEP_1)
	v_cndmask_b32_e32 v9, v12, v9, vcc_lo
	v_mul_f32_e32 v9, v6, v9
.LBB19_111:                             ;   in Loop: Header=BB19_107 Depth=1
	s_and_not1_b32 vcc_lo, exec_lo, s8
	s_cbranch_vccnz .LBB19_113
.LBB19_112:                             ;   in Loop: Header=BB19_107 Depth=1
	v_div_scale_f32 v9, null, v5, v5, v6
	v_div_scale_f32 v14, vcc_lo, v6, v5, v6
	s_delay_alu instid0(VALU_DEP_2) | instskip(SKIP_2) | instid1(VALU_DEP_1)
	v_rcp_f32_e32 v12, v9
	s_waitcnt_depctr 0xfff
	v_fma_f32 v13, -v9, v12, 1.0
	v_fmac_f32_e32 v12, v13, v12
	s_delay_alu instid0(VALU_DEP_1) | instskip(NEXT) | instid1(VALU_DEP_1)
	v_mul_f32_e32 v13, v14, v12
	v_fma_f32 v15, -v9, v13, v14
	s_delay_alu instid0(VALU_DEP_1) | instskip(NEXT) | instid1(VALU_DEP_1)
	v_fmac_f32_e32 v13, v15, v12
	v_fma_f32 v9, -v9, v13, v14
	s_delay_alu instid0(VALU_DEP_1) | instskip(NEXT) | instid1(VALU_DEP_1)
	v_div_fmas_f32 v9, v9, v12, v13
	v_div_fixup_f32 v6, v9, v5, v6
	s_delay_alu instid0(VALU_DEP_1) | instskip(NEXT) | instid1(VALU_DEP_1)
	v_fma_f32 v6, v6, v6, 1.0
	v_mul_f32_e32 v9, 0x4f800000, v6
	v_cmp_gt_f32_e32 vcc_lo, 0xf800000, v6
	s_delay_alu instid0(VALU_DEP_2) | instskip(NEXT) | instid1(VALU_DEP_1)
	v_cndmask_b32_e32 v6, v6, v9, vcc_lo
	v_sqrt_f32_e32 v9, v6
	s_waitcnt_depctr 0xfff
	v_add_nc_u32_e32 v12, -1, v9
	v_add_nc_u32_e32 v13, 1, v9
	s_delay_alu instid0(VALU_DEP_2) | instskip(NEXT) | instid1(VALU_DEP_2)
	v_fma_f32 v14, -v12, v9, v6
	v_fma_f32 v15, -v13, v9, v6
	s_delay_alu instid0(VALU_DEP_2) | instskip(NEXT) | instid1(VALU_DEP_1)
	v_cmp_ge_f32_e64 s3, 0, v14
	v_cndmask_b32_e64 v9, v9, v12, s3
	s_delay_alu instid0(VALU_DEP_3) | instskip(NEXT) | instid1(VALU_DEP_1)
	v_cmp_lt_f32_e64 s3, 0, v15
	v_cndmask_b32_e64 v9, v9, v13, s3
	s_delay_alu instid0(VALU_DEP_1) | instskip(NEXT) | instid1(VALU_DEP_1)
	v_mul_f32_e32 v12, 0x37800000, v9
	v_cndmask_b32_e32 v9, v9, v12, vcc_lo
	v_cmp_class_f32_e64 vcc_lo, v6, 0x260
	s_delay_alu instid0(VALU_DEP_2) | instskip(NEXT) | instid1(VALU_DEP_1)
	v_cndmask_b32_e32 v6, v9, v6, vcc_lo
	v_mul_f32_e32 v9, v5, v6
.LBB19_113:                             ;   in Loop: Header=BB19_107 Depth=1
	s_delay_alu instid0(VALU_DEP_1)
	v_cvt_f64_f32_e32 v[5:6], v9
	buffer_gl0_inv
	v_cmp_ge_f64_e32 vcc_lo, v[1:2], v[5:6]
	v_cndmask_b32_e64 v5, v7, s25, vcc_lo
	v_cndmask_b32_e64 v6, v8, s29, vcc_lo
	s_and_saveexec_b32 s3, s2
	s_cbranch_execz .LBB19_115
; %bb.114:                              ;   in Loop: Header=BB19_107 Depth=1
	v_mov_b32_e32 v9, s6
	ds_store_b64 v9, v[5:6]
.LBB19_115:                             ;   in Loop: Header=BB19_107 Depth=1
	s_or_b32 exec_lo, exec_lo, s3
	s_mov_b32 s3, -1
	s_mov_b32 s8, 0
	s_branch .LBB19_118
.LBB19_116:                             ;   in Loop: Header=BB19_107 Depth=1
	s_mov_b32 s3, 0
                                        ; implicit-def: $vgpr5
	s_mov_b32 s8, 0
	s_cbranch_execz .LBB19_118
; %bb.117:                              ;   in Loop: Header=BB19_107 Depth=1
	s_waitcnt lgkmcnt(0)
	v_cmp_neq_f32_e32 vcc_lo, 0, v7
	v_cmp_neq_f32_e64 s3, 0, v8
	v_dual_mov_b32 v5, v7 :: v_dual_mov_b32 v6, v8
	s_mov_b32 s8, -1
	s_delay_alu instid0(VALU_DEP_2)
	s_or_b32 s3, vcc_lo, s3
.LBB19_118:                             ;   in Loop: Header=BB19_107 Depth=1
	s_delay_alu instid0(SALU_CYCLE_1)
	s_and_not1_b32 vcc_lo, exec_lo, s3
                                        ; implicit-def: $sgpr6
	s_cbranch_vccz .LBB19_121
; %bb.119:                              ;   in Loop: Header=BB19_107 Depth=1
	s_and_not1_b32 vcc_lo, exec_lo, s8
	s_cbranch_vccz .LBB19_130
.LBB19_120:                             ;   in Loop: Header=BB19_107 Depth=1
	s_cmp_eq_u32 s6, s28
	s_cbranch_scc0 .LBB19_131
	s_branch .LBB19_133
.LBB19_121:                             ;   in Loop: Header=BB19_107 Depth=1
	s_add_i32 s6, s4, 1
	s_mov_b32 s8, exec_lo
	v_add_nc_u32_e32 v12, s6, v3
	s_delay_alu instid0(VALU_DEP_1)
	v_cmpx_gt_i32_e64 s28, v12
	s_cbranch_execz .LBB19_129
; %bb.122:                              ;   in Loop: Header=BB19_107 Depth=1
	v_mul_f32_e32 v9, v6, v6
	s_mov_b32 s9, 0
	s_delay_alu instid0(VALU_DEP_1) | instskip(SKIP_1) | instid1(VALU_DEP_1)
	v_fmac_f32_e32 v9, v5, v5
	s_waitcnt lgkmcnt(0)
	v_div_scale_f32 v7, null, v9, v9, 1.0
	v_div_scale_f32 v14, vcc_lo, 1.0, v9, 1.0
	s_delay_alu instid0(VALU_DEP_2) | instskip(SKIP_2) | instid1(VALU_DEP_1)
	v_rcp_f32_e32 v8, v7
	s_waitcnt_depctr 0xfff
	v_fma_f32 v13, -v7, v8, 1.0
	v_fmac_f32_e32 v8, v13, v8
	s_delay_alu instid0(VALU_DEP_1) | instskip(NEXT) | instid1(VALU_DEP_1)
	v_mul_f32_e32 v15, v14, v8
	v_fma_f32 v13, -v7, v15, v14
	s_delay_alu instid0(VALU_DEP_1) | instskip(SKIP_1) | instid1(VALU_DEP_2)
	v_fmac_f32_e32 v15, v13, v8
	v_add_nc_u32_e32 v13, s6, v11
	v_fma_f32 v7, -v7, v15, v14
	s_delay_alu instid0(VALU_DEP_1) | instskip(SKIP_1) | instid1(VALU_DEP_4)
	v_div_fmas_f32 v14, v7, v8, v15
	v_mad_u64_u32 v[7:8], null, 0x210, s4, v[4:5]
	v_cmp_gt_i32_e32 vcc_lo, s28, v13
	v_mov_b32_e32 v15, v10
	s_delay_alu instid0(VALU_DEP_4)
	v_div_fixup_f32 v14, v14, v9, 1.0
	s_branch .LBB19_124
.LBB19_123:                             ;   in Loop: Header=BB19_124 Depth=2
	s_or_b32 exec_lo, exec_lo, s10
	v_add_nc_u32_e32 v12, 64, v12
	v_add_nc_u32_e32 v15, 0x200, v15
	s_delay_alu instid0(VALU_DEP_2) | instskip(NEXT) | instid1(VALU_DEP_1)
	v_cmp_le_i32_e64 s3, s28, v12
	s_or_b32 s9, s3, s9
	s_delay_alu instid0(SALU_CYCLE_1)
	s_and_not1_b32 exec_lo, exec_lo, s9
	s_cbranch_execz .LBB19_129
.LBB19_124:                             ;   Parent Loop BB19_107 Depth=1
                                        ; =>  This Loop Header: Depth=2
                                        ;       Child Loop BB19_128 Depth 3
	v_lshl_add_u32 v16, v12, 3, s5
	ds_load_b64 v[8:9], v16
	s_waitcnt lgkmcnt(0)
	buffer_gl0_inv
	v_mul_f32_e32 v17, v6, v9
	v_mul_f32_e64 v19, v6, -v8
	s_delay_alu instid0(VALU_DEP_2) | instskip(NEXT) | instid1(VALU_DEP_2)
	v_fmac_f32_e32 v17, v8, v5
	v_fmac_f32_e32 v19, v9, v5
	s_delay_alu instid0(VALU_DEP_2) | instskip(NEXT) | instid1(VALU_DEP_2)
	v_mul_f32_e32 v8, v14, v17
	v_mul_f32_e32 v9, v14, v19
	s_and_saveexec_b32 s3, s1
	s_cbranch_execz .LBB19_126
; %bb.125:                              ;   in Loop: Header=BB19_124 Depth=2
	ds_store_b64 v16, v[8:9]
.LBB19_126:                             ;   in Loop: Header=BB19_124 Depth=2
	s_or_b32 exec_lo, exec_lo, s3
	s_and_saveexec_b32 s10, vcc_lo
	s_cbranch_execz .LBB19_123
; %bb.127:                              ;   in Loop: Header=BB19_124 Depth=2
	v_dual_mov_b32 v16, v7 :: v_dual_mov_b32 v17, v13
	s_mov_b32 s11, 0
	.p2align	6
.LBB19_128:                             ;   Parent Loop BB19_107 Depth=1
                                        ;     Parent Loop BB19_124 Depth=2
                                        ; =>    This Inner Loop Header: Depth=3
	s_delay_alu instid0(VALU_DEP_1) | instskip(NEXT) | instid1(VALU_DEP_2)
	v_add_nc_u32_e32 v23, v16, v15
	v_add_nc_u32_e32 v17, 1, v17
	ds_load_b64 v[19:20], v16
	ds_load_b64 v[21:22], v23 offset:8
	v_add_nc_u32_e32 v16, 0x208, v16
	v_cmp_le_i32_e64 s3, s28, v17
	s_delay_alu instid0(VALU_DEP_1) | instskip(SKIP_3) | instid1(VALU_DEP_2)
	s_or_b32 s11, s3, s11
	s_waitcnt lgkmcnt(0)
	v_fma_f32 v21, -v8, v19, v21
	v_fma_f32 v19, -v9, v19, v22
	v_fmac_f32_e32 v21, v9, v20
	s_delay_alu instid0(VALU_DEP_2)
	v_fma_f32 v22, -v8, v20, v19
	ds_store_b64 v23, v[21:22] offset:8
	s_and_not1_b32 exec_lo, exec_lo, s11
	s_cbranch_execnz .LBB19_128
	s_branch .LBB19_123
.LBB19_129:                             ;   in Loop: Header=BB19_107 Depth=1
	s_or_b32 exec_lo, exec_lo, s8
	s_cbranch_execnz .LBB19_120
.LBB19_130:                             ;   in Loop: Header=BB19_107 Depth=1
	s_add_i32 s6, s4, 1
	s_mov_b32 s7, -1
	s_cmp_eq_u32 s6, s28
	s_cbranch_scc1 .LBB19_133
.LBB19_131:                             ;   in Loop: Header=BB19_107 Depth=1
	s_mov_b32 s4, s6
	s_branch .LBB19_107
.LBB19_132:                             ;   in Loop: Header=BB19_107 Depth=1
                                        ; implicit-def: $vgpr9
	s_branch .LBB19_112
.LBB19_133:
	s_waitcnt lgkmcnt(0)
	buffer_gl0_inv
	s_and_saveexec_b32 s2, s0
	s_cbranch_execz .LBB19_143
; %bb.134:
	s_mul_i32 s3, s30, s28
	v_bfe_u32 v4, v0, 10, 10
	v_add_nc_u32_e32 v1, s3, v3
	s_cmp_lg_u32 s34, 0
	s_mov_b32 s4, 0
	s_cselect_b32 s5, -1, 0
	v_cmp_gt_u32_e64 s0, s28, v4
	v_mul_lo_u32 v5, s28, v1
	v_mad_u32_u24 v6, 0x208, v4, v10
	s_lshl_b32 s6, s28, 6
	s_set_inst_prefetch_distance 0x1
	s_branch .LBB19_136
	.p2align	6
.LBB19_135:                             ;   in Loop: Header=BB19_136 Depth=1
	s_or_b32 exec_lo, exec_lo, s8
	v_add_nc_u32_e32 v3, 64, v3
	v_add_nc_u32_e32 v5, s6, v5
	;; [unrolled: 1-line block ×3, first 2 shown]
	s_delay_alu instid0(VALU_DEP_3) | instskip(SKIP_1) | instid1(SALU_CYCLE_1)
	v_cmp_le_i32_e32 vcc_lo, s28, v3
	s_or_b32 s4, vcc_lo, s4
	s_and_not1_b32 exec_lo, exec_lo, s4
	s_cbranch_execz .LBB19_143
.LBB19_136:                             ; =>This Loop Header: Depth=1
                                        ;     Child Loop BB19_139 Depth 2
	s_and_saveexec_b32 s8, s0
	s_cbranch_execz .LBB19_135
; %bb.137:                              ;   in Loop: Header=BB19_136 Depth=1
	v_dual_mov_b32 v7, v6 :: v_dual_mov_b32 v8, v4
	s_mov_b32 s9, 0
	s_branch .LBB19_139
	.p2align	6
.LBB19_138:                             ;   in Loop: Header=BB19_139 Depth=2
	ds_load_b64 v[9:10], v7
	v_ashrrev_i32_e32 v2, 31, v1
	v_add_nc_u32_e32 v8, 1, v8
	v_add_nc_u32_e32 v7, 0x208, v7
	s_delay_alu instid0(VALU_DEP_3) | instskip(NEXT) | instid1(VALU_DEP_3)
	v_lshlrev_b64 v[1:2], 3, v[1:2]
	v_cmp_le_i32_e32 vcc_lo, s28, v8
	s_or_b32 s9, vcc_lo, s9
	s_delay_alu instid0(VALU_DEP_2) | instskip(NEXT) | instid1(VALU_DEP_1)
	v_add_co_u32 v1, s1, s12, v1
	v_add_co_ci_u32_e64 v2, s1, s13, v2, s1
	s_waitcnt lgkmcnt(0)
	global_store_b64 v[1:2], v[9:10], off
	s_and_not1_b32 exec_lo, exec_lo, s9
	s_cbranch_execz .LBB19_135
.LBB19_139:                             ;   Parent Loop BB19_136 Depth=1
                                        ; =>  This Inner Loop Header: Depth=2
	s_and_b32 vcc_lo, exec_lo, s5
	s_cbranch_vccz .LBB19_141
; %bb.140:                              ;   in Loop: Header=BB19_139 Depth=2
	v_add_nc_u32_e32 v9, s3, v8
	s_delay_alu instid0(VALU_DEP_1)
	v_mad_u64_u32 v[1:2], null, v9, s28, v[3:4]
	s_cbranch_execnz .LBB19_138
	s_branch .LBB19_142
	.p2align	6
.LBB19_141:                             ;   in Loop: Header=BB19_139 Depth=2
                                        ; implicit-def: $vgpr1
.LBB19_142:                             ;   in Loop: Header=BB19_139 Depth=2
	v_add_nc_u32_e32 v1, v5, v8
	s_branch .LBB19_138
.LBB19_143:
	s_set_inst_prefetch_distance 0x2
	s_or_b32 exec_lo, exec_lo, s2
.LBB19_144:
	s_add_i32 s3, s30, 1
	s_delay_alu instid0(SALU_CYCLE_1)
	s_cmp_ge_i32 s3, s23
	s_cbranch_scc1 .LBB19_179
; %bb.145:
	v_and_b32_e32 v1, 0x3ff, v0
	v_bfe_u32 v6, v0, 10, 10
	s_mul_i32 s5, s30, s28
	s_cmp_lg_u32 s34, 0
	s_mul_i32 s8, s28, s28
	v_mad_u64_u32 v[2:3], null, s28, s3, v[1:2]
	v_lshlrev_b32_e32 v3, 3, v1
	v_add_nc_u32_e32 v4, s5, v6
	v_mul_u32_u24_e32 v5, 0x208, v1
	v_lshlrev_b32_e32 v10, 3, v6
	s_cselect_b32 s4, -1, 0
	s_cmp_gt_i32 s28, 0
	v_cmp_gt_i32_e64 s0, s28, v1
	v_cmp_gt_i32_e64 s1, s28, v6
	v_add_nc_u32_e32 v7, 1, v6
	v_mul_lo_u32 v8, s28, v2
	v_mad_u32_u24 v9, 0x208, v6, v3
	v_mad_u64_u32 v[2:3], null, s28, v4, s[28:29]
	v_add3_u32 v10, v5, v10, 8
	s_cselect_b32 s6, -1, 0
	s_lshl_b32 s9, s28, 6
	s_add_i32 s10, s28, 1
.LBB19_146:                             ; =>This Loop Header: Depth=1
                                        ;     Child Loop BB19_149 Depth 2
                                        ;       Child Loop BB19_152 Depth 3
                                        ;     Child Loop BB19_159 Depth 2
                                        ;       Child Loop BB19_162 Depth 3
                                        ;         Child Loop BB19_165 Depth 4
                                        ;     Child Loop BB19_170 Depth 2
                                        ;       Child Loop BB19_173 Depth 3
	s_mul_i32 s11, s3, s28
	s_waitcnt_vscnt null, 0x0
	buffer_gl0_inv
	s_and_saveexec_b32 s2, s0
	s_cbranch_execz .LBB19_156
; %bb.147:                              ;   in Loop: Header=BB19_146 Depth=1
	v_dual_mov_b32 v11, v9 :: v_dual_mov_b32 v12, v8
	v_mov_b32_e32 v3, v1
	s_mov_b32 s14, 0
	s_set_inst_prefetch_distance 0x1
	s_branch .LBB19_149
	.p2align	6
.LBB19_148:                             ;   in Loop: Header=BB19_149 Depth=2
	s_or_b32 exec_lo, exec_lo, s15
	v_add_nc_u32_e32 v3, 64, v3
	v_add_nc_u32_e32 v12, s9, v12
	;; [unrolled: 1-line block ×3, first 2 shown]
	s_delay_alu instid0(VALU_DEP_3) | instskip(SKIP_1) | instid1(SALU_CYCLE_1)
	v_cmp_le_i32_e32 vcc_lo, s28, v3
	s_or_b32 s14, vcc_lo, s14
	s_and_not1_b32 exec_lo, exec_lo, s14
	s_cbranch_execz .LBB19_156
.LBB19_149:                             ;   Parent Loop BB19_146 Depth=1
                                        ; =>  This Loop Header: Depth=2
                                        ;       Child Loop BB19_152 Depth 3
	s_and_saveexec_b32 s15, s1
	s_cbranch_execz .LBB19_148
; %bb.150:                              ;   in Loop: Header=BB19_149 Depth=2
	v_dual_mov_b32 v13, v11 :: v_dual_mov_b32 v14, v6
	s_mov_b32 s16, 0
	s_branch .LBB19_152
	.p2align	6
.LBB19_151:                             ;   in Loop: Header=BB19_152 Depth=3
	s_delay_alu instid0(VALU_DEP_1) | instskip(SKIP_1) | instid1(VALU_DEP_2)
	v_ashrrev_i32_e32 v5, 31, v4
	v_add_nc_u32_e32 v14, 1, v14
	v_lshlrev_b64 v[4:5], 3, v[4:5]
	s_delay_alu instid0(VALU_DEP_1) | instskip(NEXT) | instid1(VALU_DEP_2)
	v_add_co_u32 v4, vcc_lo, s12, v4
	v_add_co_ci_u32_e32 v5, vcc_lo, s13, v5, vcc_lo
	s_delay_alu instid0(VALU_DEP_4)
	v_cmp_le_i32_e32 vcc_lo, s28, v14
	global_load_b64 v[4:5], v[4:5], off
	s_or_b32 s16, vcc_lo, s16
	s_waitcnt vmcnt(0)
	ds_store_b64 v13, v[4:5]
	v_add_nc_u32_e32 v13, 0x208, v13
	s_and_not1_b32 exec_lo, exec_lo, s16
	s_cbranch_execz .LBB19_148
.LBB19_152:                             ;   Parent Loop BB19_146 Depth=1
                                        ;     Parent Loop BB19_149 Depth=2
                                        ; =>    This Inner Loop Header: Depth=3
	s_and_b32 vcc_lo, exec_lo, s4
	s_cbranch_vccz .LBB19_154
; %bb.153:                              ;   in Loop: Header=BB19_152 Depth=3
	v_add_nc_u32_e32 v15, s11, v14
	s_delay_alu instid0(VALU_DEP_1)
	v_mad_u64_u32 v[4:5], null, v15, s28, v[3:4]
	s_cbranch_execnz .LBB19_151
	s_branch .LBB19_155
	.p2align	6
.LBB19_154:                             ;   in Loop: Header=BB19_152 Depth=3
                                        ; implicit-def: $vgpr4
.LBB19_155:                             ;   in Loop: Header=BB19_152 Depth=3
	v_add_nc_u32_e32 v4, v12, v14
	s_branch .LBB19_151
.LBB19_156:                             ;   in Loop: Header=BB19_146 Depth=1
	s_set_inst_prefetch_distance 0x2
	s_or_b32 exec_lo, exec_lo, s2
	s_delay_alu instid0(SALU_CYCLE_1)
	s_and_not1_b32 vcc_lo, exec_lo, s6
	s_waitcnt lgkmcnt(0)
	buffer_gl0_inv
	s_cbranch_vccnz .LBB19_167
; %bb.157:                              ;   in Loop: Header=BB19_146 Depth=1
	v_mov_b32_e32 v5, v10
	v_mov_b32_e32 v11, v2
	s_mov_b32 s14, 0
	s_branch .LBB19_159
.LBB19_158:                             ;   in Loop: Header=BB19_159 Depth=2
	s_or_b32 exec_lo, exec_lo, s15
	v_add_nc_u32_e32 v11, s10, v11
	v_add_nc_u32_e32 v5, 8, v5
	s_add_i32 s14, s14, 1
	s_delay_alu instid0(SALU_CYCLE_1)
	s_cmp_eq_u32 s14, s28
	s_cbranch_scc1 .LBB19_167
.LBB19_159:                             ;   Parent Loop BB19_146 Depth=1
                                        ; =>  This Loop Header: Depth=2
                                        ;       Child Loop BB19_162 Depth 3
                                        ;         Child Loop BB19_165 Depth 4
	s_and_saveexec_b32 s15, s0
	s_cbranch_execz .LBB19_158
; %bb.160:                              ;   in Loop: Header=BB19_159 Depth=2
	v_dual_mov_b32 v13, v5 :: v_dual_add_nc_u32 v12, s14, v7
	v_mov_b32_e32 v14, v1
	s_add_i32 s16, s14, s5
	s_mov_b32 s17, 0
	s_delay_alu instid0(VALU_DEP_2)
	v_cmp_gt_i32_e64 s2, s28, v12
	s_mul_i32 s16, s16, s28
	s_branch .LBB19_162
.LBB19_161:                             ;   in Loop: Header=BB19_162 Depth=3
	s_set_inst_prefetch_distance 0x2
	s_or_b32 exec_lo, exec_lo, s25
	v_add_nc_u32_e32 v14, 64, v14
	v_add_nc_u32_e32 v13, 0x8200, v13
	s_delay_alu instid0(VALU_DEP_2) | instskip(SKIP_1) | instid1(SALU_CYCLE_1)
	v_cmp_le_i32_e32 vcc_lo, s28, v14
	s_or_b32 s17, vcc_lo, s17
	s_and_not1_b32 exec_lo, exec_lo, s17
	s_cbranch_execz .LBB19_158
.LBB19_162:                             ;   Parent Loop BB19_146 Depth=1
                                        ;     Parent Loop BB19_159 Depth=2
                                        ; =>    This Loop Header: Depth=3
                                        ;         Child Loop BB19_165 Depth 4
	s_delay_alu instid0(VALU_DEP_1)
	s_and_saveexec_b32 s25, s2
	s_cbranch_execz .LBB19_161
; %bb.163:                              ;   in Loop: Header=BB19_162 Depth=3
	v_mul_lo_u32 v3, 0x208, v14
	v_dual_mov_b32 v15, v13 :: v_dual_mov_b32 v16, v11
	v_mov_b32_e32 v18, v12
	s_mov_b32 s29, 0
	s_delay_alu instid0(VALU_DEP_3)
	v_lshl_add_u32 v17, s14, 3, v3
	s_set_inst_prefetch_distance 0x1
	s_branch .LBB19_165
	.p2align	6
.LBB19_164:                             ;   in Loop: Header=BB19_165 Depth=4
	s_delay_alu instid0(VALU_DEP_1) | instskip(SKIP_1) | instid1(VALU_DEP_2)
	v_ashrrev_i32_e32 v4, 31, v3
	v_add_nc_u32_e32 v16, s28, v16
	v_lshlrev_b64 v[3:4], 3, v[3:4]
	s_delay_alu instid0(VALU_DEP_1) | instskip(NEXT) | instid1(VALU_DEP_2)
	v_add_co_u32 v3, vcc_lo, s12, v3
	v_add_co_ci_u32_e32 v4, vcc_lo, s13, v4, vcc_lo
	global_load_b64 v[3:4], v[3:4], off
	ds_load_b64 v[19:20], v17
	ds_load_b64 v[21:22], v15
	s_waitcnt vmcnt(0) lgkmcnt(0)
	v_fma_f32 v21, -v3, v19, v21
	v_fma_f32 v19, -v4, v19, v22
	s_delay_alu instid0(VALU_DEP_2) | instskip(NEXT) | instid1(VALU_DEP_2)
	v_dual_fmac_f32 v21, v4, v20 :: v_dual_add_nc_u32 v18, 1, v18
	v_fma_f32 v22, -v3, v20, v19
	s_delay_alu instid0(VALU_DEP_2) | instskip(SKIP_3) | instid1(SALU_CYCLE_1)
	v_cmp_le_i32_e32 vcc_lo, s28, v18
	ds_store_b64 v15, v[21:22]
	v_add_nc_u32_e32 v15, 8, v15
	s_or_b32 s29, vcc_lo, s29
	s_and_not1_b32 exec_lo, exec_lo, s29
	s_cbranch_execz .LBB19_161
.LBB19_165:                             ;   Parent Loop BB19_146 Depth=1
                                        ;     Parent Loop BB19_159 Depth=2
                                        ;       Parent Loop BB19_162 Depth=3
                                        ; =>      This Inner Loop Header: Depth=4
	v_mov_b32_e32 v3, v16
	s_and_not1_b32 vcc_lo, exec_lo, s4
	s_cbranch_vccnz .LBB19_164
; %bb.166:                              ;   in Loop: Header=BB19_165 Depth=4
	v_add_nc_u32_e32 v3, s16, v18
	s_branch .LBB19_164
.LBB19_167:                             ;   in Loop: Header=BB19_146 Depth=1
	s_waitcnt lgkmcnt(0)
	buffer_gl0_inv
	s_and_saveexec_b32 s14, s0
	s_cbranch_execz .LBB19_177
; %bb.168:                              ;   in Loop: Header=BB19_146 Depth=1
	v_dual_mov_b32 v11, v9 :: v_dual_mov_b32 v12, v8
	v_mov_b32_e32 v3, v1
	s_mov_b32 s15, 0
	s_set_inst_prefetch_distance 0x1
	s_branch .LBB19_170
	.p2align	6
.LBB19_169:                             ;   in Loop: Header=BB19_170 Depth=2
	s_or_b32 exec_lo, exec_lo, s16
	v_add_nc_u32_e32 v3, 64, v3
	v_add_nc_u32_e32 v12, s9, v12
	;; [unrolled: 1-line block ×3, first 2 shown]
	s_delay_alu instid0(VALU_DEP_3) | instskip(SKIP_1) | instid1(SALU_CYCLE_1)
	v_cmp_le_i32_e32 vcc_lo, s28, v3
	s_or_b32 s15, vcc_lo, s15
	s_and_not1_b32 exec_lo, exec_lo, s15
	s_cbranch_execz .LBB19_177
.LBB19_170:                             ;   Parent Loop BB19_146 Depth=1
                                        ; =>  This Loop Header: Depth=2
                                        ;       Child Loop BB19_173 Depth 3
	s_and_saveexec_b32 s16, s1
	s_cbranch_execz .LBB19_169
; %bb.171:                              ;   in Loop: Header=BB19_170 Depth=2
	v_dual_mov_b32 v13, v11 :: v_dual_mov_b32 v14, v6
	s_mov_b32 s17, 0
	s_branch .LBB19_173
	.p2align	6
.LBB19_172:                             ;   in Loop: Header=BB19_173 Depth=3
	ds_load_b64 v[15:16], v13
	v_ashrrev_i32_e32 v5, 31, v4
	v_add_nc_u32_e32 v14, 1, v14
	v_add_nc_u32_e32 v13, 0x208, v13
	s_delay_alu instid0(VALU_DEP_3) | instskip(NEXT) | instid1(VALU_DEP_3)
	v_lshlrev_b64 v[4:5], 3, v[4:5]
	v_cmp_le_i32_e32 vcc_lo, s28, v14
	s_or_b32 s17, vcc_lo, s17
	s_delay_alu instid0(VALU_DEP_2) | instskip(NEXT) | instid1(VALU_DEP_1)
	v_add_co_u32 v4, s2, s12, v4
	v_add_co_ci_u32_e64 v5, s2, s13, v5, s2
	s_waitcnt lgkmcnt(0)
	global_store_b64 v[4:5], v[15:16], off
	s_and_not1_b32 exec_lo, exec_lo, s17
	s_cbranch_execz .LBB19_169
.LBB19_173:                             ;   Parent Loop BB19_146 Depth=1
                                        ;     Parent Loop BB19_170 Depth=2
                                        ; =>    This Inner Loop Header: Depth=3
	s_and_b32 vcc_lo, exec_lo, s4
	s_cbranch_vccz .LBB19_175
; %bb.174:                              ;   in Loop: Header=BB19_173 Depth=3
	v_add_nc_u32_e32 v15, s11, v14
	s_delay_alu instid0(VALU_DEP_1)
	v_mad_u64_u32 v[4:5], null, v15, s28, v[3:4]
	s_cbranch_execnz .LBB19_172
	s_branch .LBB19_176
	.p2align	6
.LBB19_175:                             ;   in Loop: Header=BB19_173 Depth=3
                                        ; implicit-def: $vgpr4
.LBB19_176:                             ;   in Loop: Header=BB19_173 Depth=3
	v_add_nc_u32_e32 v4, v12, v14
	s_branch .LBB19_172
.LBB19_177:                             ;   in Loop: Header=BB19_146 Depth=1
	s_set_inst_prefetch_distance 0x2
	s_or_b32 exec_lo, exec_lo, s14
; %bb.178:                              ;   in Loop: Header=BB19_146 Depth=1
	v_add_nc_u32_e32 v8, s8, v8
	s_add_i32 s3, s3, 1
	s_delay_alu instid0(SALU_CYCLE_1)
	s_cmp_ge_i32 s3, s23
	s_cbranch_scc0 .LBB19_146
.LBB19_179:
	s_waitcnt vmcnt(0)
	v_and_b32_e32 v1, 0x3ff, v0
	v_bfe_u32 v0, v0, 10, 10
	s_mov_b32 s0, exec_lo
	s_delay_alu instid0(VALU_DEP_1) | instskip(NEXT) | instid1(VALU_DEP_1)
	v_or_b32_e32 v0, v1, v0
	v_cmpx_eq_u32_e32 0, v0
	s_cbranch_execz .LBB19_183
; %bb.180:
	v_dual_mov_b32 v0, 0 :: v_dual_mov_b32 v1, 1
	s_add_u32 s0, s20, s26
	s_addc_u32 s1, s21, s27
	s_and_not1_b32 vcc_lo, exec_lo, s7
	s_waitcnt_vscnt null, 0x0
	global_store_b32 v0, v1, s[0:1]
	s_cbranch_vccnz .LBB19_183
; %bb.181:
	v_mbcnt_lo_u32_b32 v0, exec_lo, 0
	s_delay_alu instid0(VALU_DEP_1)
	v_cmp_eq_u32_e32 vcc_lo, 0, v0
	s_and_b32 exec_lo, exec_lo, vcc_lo
	s_cbranch_execz .LBB19_183
; %bb.182:
	s_add_i32 s0, s22, s24
	s_delay_alu instid0(SALU_CYCLE_1)
	v_dual_mov_b32 v0, 0 :: v_dual_mov_b32 v1, s0
	global_atomic_min_i32 v0, v1, s[18:19]
.LBB19_183:
	s_nop 0
	s_sendmsg sendmsg(MSG_DEALLOC_VGPRS)
	s_endpgm
	.section	.rodata,"a",@progbits
	.p2align	6, 0x0
	.amdhsa_kernel _ZN9rocsparseL13bsrilu0_33_64ILj64ELj64ELj64E21rocsparse_complex_numIfEEEv20rocsparse_direction_iPKiS5_PT2_S5_iPiS5_S8_21rocsparse_index_base_imNS_24const_host_device_scalarIfEENSA_IdEENSA_IS6_EEb
		.amdhsa_group_segment_fixed_size 33280
		.amdhsa_private_segment_fixed_size 0
		.amdhsa_kernarg_size 116
		.amdhsa_user_sgpr_count 15
		.amdhsa_user_sgpr_dispatch_ptr 0
		.amdhsa_user_sgpr_queue_ptr 0
		.amdhsa_user_sgpr_kernarg_segment_ptr 1
		.amdhsa_user_sgpr_dispatch_id 0
		.amdhsa_user_sgpr_private_segment_size 0
		.amdhsa_wavefront_size32 1
		.amdhsa_uses_dynamic_stack 0
		.amdhsa_enable_private_segment 0
		.amdhsa_system_sgpr_workgroup_id_x 1
		.amdhsa_system_sgpr_workgroup_id_y 0
		.amdhsa_system_sgpr_workgroup_id_z 0
		.amdhsa_system_sgpr_workgroup_info 0
		.amdhsa_system_vgpr_workitem_id 1
		.amdhsa_next_free_vgpr 37
		.amdhsa_next_free_sgpr 51
		.amdhsa_reserve_vcc 1
		.amdhsa_float_round_mode_32 0
		.amdhsa_float_round_mode_16_64 0
		.amdhsa_float_denorm_mode_32 3
		.amdhsa_float_denorm_mode_16_64 3
		.amdhsa_dx10_clamp 1
		.amdhsa_ieee_mode 1
		.amdhsa_fp16_overflow 0
		.amdhsa_workgroup_processor_mode 1
		.amdhsa_memory_ordered 1
		.amdhsa_forward_progress 0
		.amdhsa_shared_vgpr_count 0
		.amdhsa_exception_fp_ieee_invalid_op 0
		.amdhsa_exception_fp_denorm_src 0
		.amdhsa_exception_fp_ieee_div_zero 0
		.amdhsa_exception_fp_ieee_overflow 0
		.amdhsa_exception_fp_ieee_underflow 0
		.amdhsa_exception_fp_ieee_inexact 0
		.amdhsa_exception_int_div_zero 0
	.end_amdhsa_kernel
	.section	.text._ZN9rocsparseL13bsrilu0_33_64ILj64ELj64ELj64E21rocsparse_complex_numIfEEEv20rocsparse_direction_iPKiS5_PT2_S5_iPiS5_S8_21rocsparse_index_base_imNS_24const_host_device_scalarIfEENSA_IdEENSA_IS6_EEb,"axG",@progbits,_ZN9rocsparseL13bsrilu0_33_64ILj64ELj64ELj64E21rocsparse_complex_numIfEEEv20rocsparse_direction_iPKiS5_PT2_S5_iPiS5_S8_21rocsparse_index_base_imNS_24const_host_device_scalarIfEENSA_IdEENSA_IS6_EEb,comdat
.Lfunc_end19:
	.size	_ZN9rocsparseL13bsrilu0_33_64ILj64ELj64ELj64E21rocsparse_complex_numIfEEEv20rocsparse_direction_iPKiS5_PT2_S5_iPiS5_S8_21rocsparse_index_base_imNS_24const_host_device_scalarIfEENSA_IdEENSA_IS6_EEb, .Lfunc_end19-_ZN9rocsparseL13bsrilu0_33_64ILj64ELj64ELj64E21rocsparse_complex_numIfEEEv20rocsparse_direction_iPKiS5_PT2_S5_iPiS5_S8_21rocsparse_index_base_imNS_24const_host_device_scalarIfEENSA_IdEENSA_IS6_EEb
                                        ; -- End function
	.section	.AMDGPU.csdata,"",@progbits
; Kernel info:
; codeLenInByte = 5956
; NumSgprs: 53
; NumVgprs: 37
; ScratchSize: 0
; MemoryBound: 0
; FloatMode: 240
; IeeeMode: 1
; LDSByteSize: 33280 bytes/workgroup (compile time only)
; SGPRBlocks: 6
; VGPRBlocks: 4
; NumSGPRsForWavesPerEU: 53
; NumVGPRsForWavesPerEU: 37
; Occupancy: 2
; WaveLimiterHint : 1
; COMPUTE_PGM_RSRC2:SCRATCH_EN: 0
; COMPUTE_PGM_RSRC2:USER_SGPR: 15
; COMPUTE_PGM_RSRC2:TRAP_HANDLER: 0
; COMPUTE_PGM_RSRC2:TGID_X_EN: 1
; COMPUTE_PGM_RSRC2:TGID_Y_EN: 0
; COMPUTE_PGM_RSRC2:TGID_Z_EN: 0
; COMPUTE_PGM_RSRC2:TIDIG_COMP_CNT: 1
	.section	.text._ZN9rocsparseL15bsrilu0_generalILj128ELj64ELb0E21rocsparse_complex_numIfEEEv20rocsparse_direction_iPKiS5_PT2_S5_iPiS5_S8_21rocsparse_index_base_imNS_24const_host_device_scalarIfEENSA_IdEENSA_IS6_EEb,"axG",@progbits,_ZN9rocsparseL15bsrilu0_generalILj128ELj64ELb0E21rocsparse_complex_numIfEEEv20rocsparse_direction_iPKiS5_PT2_S5_iPiS5_S8_21rocsparse_index_base_imNS_24const_host_device_scalarIfEENSA_IdEENSA_IS6_EEb,comdat
	.globl	_ZN9rocsparseL15bsrilu0_generalILj128ELj64ELb0E21rocsparse_complex_numIfEEEv20rocsparse_direction_iPKiS5_PT2_S5_iPiS5_S8_21rocsparse_index_base_imNS_24const_host_device_scalarIfEENSA_IdEENSA_IS6_EEb ; -- Begin function _ZN9rocsparseL15bsrilu0_generalILj128ELj64ELb0E21rocsparse_complex_numIfEEEv20rocsparse_direction_iPKiS5_PT2_S5_iPiS5_S8_21rocsparse_index_base_imNS_24const_host_device_scalarIfEENSA_IdEENSA_IS6_EEb
	.p2align	8
	.type	_ZN9rocsparseL15bsrilu0_generalILj128ELj64ELb0E21rocsparse_complex_numIfEEEv20rocsparse_direction_iPKiS5_PT2_S5_iPiS5_S8_21rocsparse_index_base_imNS_24const_host_device_scalarIfEENSA_IdEENSA_IS6_EEb,@function
_ZN9rocsparseL15bsrilu0_generalILj128ELj64ELb0E21rocsparse_complex_numIfEEEv20rocsparse_direction_iPKiS5_PT2_S5_iPiS5_S8_21rocsparse_index_base_imNS_24const_host_device_scalarIfEENSA_IdEENSA_IS6_EEb: ; @_ZN9rocsparseL15bsrilu0_generalILj128ELj64ELb0E21rocsparse_complex_numIfEEEv20rocsparse_direction_iPKiS5_PT2_S5_iPiS5_S8_21rocsparse_index_base_imNS_24const_host_device_scalarIfEENSA_IdEENSA_IS6_EEb
; %bb.0:
	s_clause 0x2
	s_load_b32 s2, s[0:1], 0x70
	s_load_b64 s[24:25], s[0:1], 0x48
	s_load_b256 s[16:23], s[0:1], 0x50
	s_waitcnt lgkmcnt(0)
	s_bitcmp1_b32 s2, 0
	s_cselect_b32 s4, -1, 0
	s_cmp_lg_u32 s25, 0
	s_cselect_b32 s5, -1, 0
	s_cmp_eq_u32 s25, 0
	s_cselect_b32 s7, -1, 0
	s_delay_alu instid0(SALU_CYCLE_1) | instskip(SKIP_3) | instid1(SALU_CYCLE_1)
	s_and_b32 s2, s7, exec_lo
	s_cselect_b32 s2, 0, s20
	s_cselect_b32 s3, 0, s21
	s_or_b32 s6, s7, s4
	s_and_b32 vcc_lo, exec_lo, s6
	s_xor_b32 s6, s6, -1
	s_cbranch_vccnz .LBB20_2
; %bb.1:
	s_load_b32 s2, s[18:19], 0x0
	s_waitcnt lgkmcnt(0)
	v_mov_b32_e32 v25, s2
	s_mov_b64 s[2:3], s[20:21]
	s_delay_alu instid0(SALU_CYCLE_1)
	v_dual_mov_b32 v7, s3 :: v_dual_mov_b32 v6, s2
	s_and_not1_b32 vcc_lo, exec_lo, s6
	s_cbranch_vccz .LBB20_3
	s_branch .LBB20_4
.LBB20_2:
	v_cndmask_b32_e64 v25, s18, 0, s7
	v_dual_mov_b32 v7, s3 :: v_dual_mov_b32 v6, s2
	s_and_not1_b32 vcc_lo, exec_lo, s6
	s_cbranch_vccnz .LBB20_4
.LBB20_3:
	v_dual_mov_b32 v1, s20 :: v_dual_mov_b32 v2, s21
	flat_load_b64 v[6:7], v[1:2]
.LBB20_4:
	v_cndmask_b32_e64 v24, 0, 1, s5
	s_mov_b32 s26, 0
	s_and_not1_b32 vcc_lo, exec_lo, s5
	s_mov_b32 s25, s26
	s_cbranch_vccnz .LBB20_10
; %bb.5:
	s_xor_b32 s2, s4, -1
	s_mov_b32 s25, s22
	v_cndmask_b32_e64 v1, 0, 1, s2
	s_and_not1_b32 vcc_lo, exec_lo, s2
	s_cbranch_vccnz .LBB20_7
; %bb.6:
	s_load_b32 s25, s[22:23], 0x0
.LBB20_7:
	s_delay_alu instid0(VALU_DEP_1)
	v_cmp_ne_u32_e32 vcc_lo, 1, v1
	s_cbranch_vccnz .LBB20_9
; %bb.8:
	s_load_b32 s23, s[22:23], 0x4
.LBB20_9:
	s_waitcnt lgkmcnt(0)
	s_mov_b32 s26, s23
.LBB20_10:
	s_load_b64 s[20:21], s[0:1], 0x0
	v_lshrrev_b32_e32 v1, 6, v0
	s_lshl_b32 s2, s15, 1
	s_delay_alu instid0(VALU_DEP_1) | instid1(SALU_CYCLE_1)
	v_and_or_b32 v1, 0x3fffffe, s2, v1
	s_mov_b32 s2, exec_lo
	s_waitcnt lgkmcnt(0)
	s_delay_alu instid0(VALU_DEP_1)
	v_cmpx_gt_i32_e64 s21, v1
	s_cbranch_execz .LBB20_161
; %bb.11:
	s_clause 0x1
	s_load_b128 s[12:15], s[0:1], 0x30
	s_load_b64 s[18:19], s[0:1], 0x40
	v_lshlrev_b32_e32 v1, 2, v1
	s_load_b256 s[4:11], s[0:1], 0x8
	v_and_b32_e32 v0, 63, v0
	s_mov_b32 s2, -1
	s_waitcnt lgkmcnt(0)
	global_load_b32 v1, v1, s[14:15]
	s_mov_b32 s15, exec_lo
	s_waitcnt vmcnt(0)
	v_ashrrev_i32_e32 v2, 31, v1
	s_delay_alu instid0(VALU_DEP_1) | instskip(NEXT) | instid1(VALU_DEP_1)
	v_lshlrev_b64 v[2:3], 2, v[1:2]
	v_add_co_u32 v4, vcc_lo, s10, v2
	s_delay_alu instid0(VALU_DEP_2)
	v_add_co_ci_u32_e32 v5, vcc_lo, s11, v3, vcc_lo
	global_load_b32 v4, v[4:5], off
	s_waitcnt vmcnt(0)
	v_cmpx_ne_u32_e32 -1, v4
	s_cbranch_execz .LBB20_155
; %bb.12:
	v_add_co_u32 v8, vcc_lo, s4, v2
	v_add_co_ci_u32_e32 v9, vcc_lo, s5, v3, vcc_lo
	s_load_b32 s14, s[0:1], 0x28
	s_mov_b32 s3, 0
	s_mov_b32 s22, exec_lo
	global_load_b64 v[8:9], v[8:9], off
	s_waitcnt vmcnt(0)
	v_subrev_nc_u32_e32 v8, s24, v8
	v_subrev_nc_u32_e32 v23, s24, v9
	s_delay_alu instid0(VALU_DEP_2)
	v_cmpx_lt_i32_e64 v8, v4
	s_cbranch_execz .LBB20_84
; %bb.13:
	v_add_nc_u32_e32 v10, v8, v0
	s_waitcnt lgkmcnt(0)
	v_mad_u64_u32 v[13:14], null, s14, v8, v[0:1]
	s_cmp_gt_i32 s14, 0
	v_cmp_gt_i32_e64 s0, s14, v0
	v_ashrrev_i32_e32 v11, 31, v10
	s_cselect_b32 s23, -1, 0
	s_cmp_lg_u32 s20, 0
	v_cmp_le_i32_e64 s1, s14, v0
	s_delay_alu instid0(VALU_DEP_4)
	v_mul_lo_u32 v26, s14, v13
	v_lshlrev_b64 v[11:12], 2, v[10:11]
	s_cselect_b32 s28, -1, 0
	s_add_i32 s21, s21, 1
	v_cmp_lt_i32_e64 s2, v10, v23
	s_add_u32 s29, s4, 4
	s_addc_u32 s30, s5, 0
	v_add_co_u32 v11, vcc_lo, s6, v11
	v_add_co_ci_u32_e32 v12, vcc_lo, s7, v12, vcc_lo
	s_add_u32 s31, s6, 0x100
	s_mov_b32 s27, 0
	s_addc_u32 s33, s7, 0
	s_mul_i32 s34, s14, s14
	s_lshl_b32 s35, s14, 6
	s_mov_b32 s36, 0
                                        ; implicit-def: $sgpr37
                                        ; implicit-def: $sgpr38
	s_branch .LBB20_16
.LBB20_14:                              ;   in Loop: Header=BB20_16 Depth=1
	s_or_b32 exec_lo, exec_lo, s4
	s_delay_alu instid0(SALU_CYCLE_1) | instskip(SKIP_1) | instid1(SALU_CYCLE_1)
	s_and_not1_b32 s4, s38, exec_lo
	s_and_b32 s5, s27, exec_lo
	s_or_b32 s38, s4, s5
.LBB20_15:                              ;   in Loop: Header=BB20_16 Depth=1
	s_or_b32 exec_lo, exec_lo, s39
	v_add_nc_u32_e32 v8, 1, v8
	s_xor_b32 s3, s3, -1
	v_add_nc_u32_e32 v26, s34, v26
	s_mov_b32 s27, s38
	s_delay_alu instid0(VALU_DEP_2) | instskip(SKIP_1) | instid1(SALU_CYCLE_1)
	v_cmp_ge_i32_e32 vcc_lo, v8, v4
	s_or_b32 s3, s3, vcc_lo
	s_and_b32 s3, exec_lo, s3
	s_delay_alu instid0(SALU_CYCLE_1) | instskip(SKIP_2) | instid1(SALU_CYCLE_1)
	s_or_b32 s36, s3, s36
	s_and_not1_b32 s3, s37, exec_lo
	s_and_b32 s4, s38, exec_lo
	s_or_b32 s37, s3, s4
	s_and_not1_b32 exec_lo, exec_lo, s36
	s_cbranch_execz .LBB20_83
.LBB20_16:                              ; =>This Loop Header: Depth=1
                                        ;     Child Loop BB20_19 Depth 2
                                        ;     Child Loop BB20_24 Depth 2
                                        ;       Child Loop BB20_29 Depth 3
                                        ;         Child Loop BB20_39 Depth 4
                                        ;     Child Loop BB20_57 Depth 2
                                        ;       Child Loop BB20_62 Depth 3
                                        ;       Child Loop BB20_69 Depth 3
                                        ;         Child Loop BB20_72 Depth 4
                                        ;           Child Loop BB20_74 Depth 5
	v_ashrrev_i32_e32 v9, 31, v8
	s_or_b32 s38, s38, exec_lo
	s_delay_alu instid0(VALU_DEP_1) | instskip(NEXT) | instid1(VALU_DEP_1)
	v_lshlrev_b64 v[13:14], 2, v[8:9]
	v_add_co_u32 v13, vcc_lo, s6, v13
	s_delay_alu instid0(VALU_DEP_2) | instskip(SKIP_4) | instid1(VALU_DEP_1)
	v_add_co_ci_u32_e32 v14, vcc_lo, s7, v14, vcc_lo
	s_waitcnt lgkmcnt(0)
	global_load_b32 v5, v[13:14], off
	s_waitcnt vmcnt(0)
	v_subrev_nc_u32_e32 v13, s24, v5
	v_ashrrev_i32_e32 v14, 31, v13
	s_delay_alu instid0(VALU_DEP_1) | instskip(NEXT) | instid1(VALU_DEP_1)
	v_lshlrev_b64 v[13:14], 2, v[13:14]
	v_add_co_u32 v15, vcc_lo, s10, v13
	s_delay_alu instid0(VALU_DEP_2) | instskip(SKIP_3) | instid1(VALU_DEP_1)
	v_add_co_ci_u32_e32 v16, vcc_lo, s11, v14, vcc_lo
	global_load_b32 v28, v[15:16], off
	s_waitcnt vmcnt(0)
	v_cmp_ne_u32_e64 s3, -1, v28
	s_and_saveexec_b32 s39, s3
	s_cbranch_execz .LBB20_15
; %bb.17:                               ;   in Loop: Header=BB20_16 Depth=1
	v_add_co_u32 v15, vcc_lo, s29, v13
	v_add_co_ci_u32_e32 v16, vcc_lo, s30, v14, vcc_lo
	v_add_co_u32 v13, vcc_lo, s12, v13
	v_add_co_ci_u32_e32 v14, vcc_lo, s13, v14, vcc_lo
	s_mov_b32 s4, exec_lo
	global_load_b32 v29, v[15:16], off
	global_load_b32 v5, v[13:14], off glc
	s_waitcnt vmcnt(0)
	v_cmpx_eq_u32_e32 0, v5
	s_cbranch_execz .LBB20_20
; %bb.18:                               ;   in Loop: Header=BB20_16 Depth=1
	s_mov_b32 s5, 0
.LBB20_19:                              ;   Parent Loop BB20_16 Depth=1
                                        ; =>  This Inner Loop Header: Depth=2
	global_load_b32 v5, v[13:14], off glc
	s_waitcnt vmcnt(0)
	v_cmp_ne_u32_e32 vcc_lo, 0, v5
	s_or_b32 s5, vcc_lo, s5
	s_delay_alu instid0(SALU_CYCLE_1)
	s_and_not1_b32 exec_lo, exec_lo, s5
	s_cbranch_execnz .LBB20_19
.LBB20_20:                              ;   in Loop: Header=BB20_16 Depth=1
	s_or_b32 exec_lo, exec_lo, s4
	v_mul_lo_u32 v27, v8, s14
	s_and_not1_b32 vcc_lo, exec_lo, s23
	buffer_gl1_inv
	buffer_gl0_inv
	s_cbranch_vccnz .LBB20_53
; %bb.21:                               ;   in Loop: Header=BB20_16 Depth=1
	v_mul_lo_u32 v30, v28, s14
	v_mov_b32_e32 v5, 0
	s_mov_b32 s40, 0
	s_branch .LBB20_24
.LBB20_22:                              ;   in Loop: Header=BB20_24 Depth=2
	s_or_b32 exec_lo, exec_lo, s42
	v_mov_b32_e32 v5, v31
.LBB20_23:                              ;   in Loop: Header=BB20_24 Depth=2
	s_or_b32 exec_lo, exec_lo, s41
	s_delay_alu instid0(VALU_DEP_1) | instskip(SKIP_1) | instid1(SALU_CYCLE_1)
	v_cmp_eq_u32_e32 vcc_lo, s14, v5
	s_or_b32 s40, vcc_lo, s40
	s_and_not1_b32 exec_lo, exec_lo, s40
	s_cbranch_execz .LBB20_52
.LBB20_24:                              ;   Parent Loop BB20_16 Depth=1
                                        ; =>  This Loop Header: Depth=2
                                        ;       Child Loop BB20_29 Depth 3
                                        ;         Child Loop BB20_39 Depth 4
	s_delay_alu instid0(VALU_DEP_1) | instskip(SKIP_1) | instid1(SALU_CYCLE_1)
	v_add_nc_u32_e32 v31, 1, v5
	s_and_saveexec_b32 s4, s1
	s_xor_b32 s4, exec_lo, s4
; %bb.25:                               ;   in Loop: Header=BB20_24 Depth=2
	v_add_nc_u32_e32 v5, 1, v5
                                        ; implicit-def: $vgpr31
; %bb.26:                               ;   in Loop: Header=BB20_24 Depth=2
	s_and_not1_saveexec_b32 s41, s4
	s_cbranch_execz .LBB20_23
; %bb.27:                               ;   in Loop: Header=BB20_24 Depth=2
	s_delay_alu instid0(VALU_DEP_1) | instskip(SKIP_2) | instid1(VALU_DEP_2)
	v_dual_mov_b32 v34, v26 :: v_dual_add_nc_u32 v9, v5, v30
	v_cmp_gt_i32_e64 s4, s14, v31
	s_mov_b32 s42, 0
	v_mul_lo_u32 v32, v9, s14
	s_delay_alu instid0(VALU_DEP_1) | instskip(NEXT) | instid1(VALU_DEP_1)
	v_add_nc_u32_e32 v13, v32, v5
	v_ashrrev_i32_e32 v14, 31, v13
	s_delay_alu instid0(VALU_DEP_1) | instskip(NEXT) | instid1(VALU_DEP_1)
	v_lshlrev_b64 v[13:14], 3, v[13:14]
	v_add_co_u32 v13, vcc_lo, s8, v13
	s_delay_alu instid0(VALU_DEP_2) | instskip(SKIP_3) | instid1(VALU_DEP_1)
	v_add_co_ci_u32_e32 v14, vcc_lo, s9, v14, vcc_lo
	global_load_b64 v[13:14], v[13:14], off
	s_waitcnt vmcnt(0)
	v_mul_f32_e32 v9, v14, v14
	v_fmac_f32_e32 v9, v13, v13
	s_delay_alu instid0(VALU_DEP_1) | instskip(SKIP_1) | instid1(VALU_DEP_2)
	v_div_scale_f32 v15, null, v9, v9, 1.0
	v_div_scale_f32 v18, vcc_lo, 1.0, v9, 1.0
	v_rcp_f32_e32 v16, v15
	s_waitcnt_depctr 0xfff
	v_fma_f32 v17, -v15, v16, 1.0
	s_delay_alu instid0(VALU_DEP_1) | instskip(NEXT) | instid1(VALU_DEP_1)
	v_fmac_f32_e32 v16, v17, v16
	v_mul_f32_e32 v17, v18, v16
	s_delay_alu instid0(VALU_DEP_1) | instskip(NEXT) | instid1(VALU_DEP_1)
	v_fma_f32 v19, -v15, v17, v18
	v_fmac_f32_e32 v17, v19, v16
	s_delay_alu instid0(VALU_DEP_1) | instskip(SKIP_1) | instid1(VALU_DEP_2)
	v_fma_f32 v15, -v15, v17, v18
	v_add_nc_u32_e32 v18, v5, v27
	v_div_fmas_f32 v15, v15, v16, v17
	s_delay_alu instid0(VALU_DEP_2) | instskip(NEXT) | instid1(VALU_DEP_2)
	v_mul_lo_u32 v33, v18, s14
	v_div_fixup_f32 v35, v15, v9, 1.0
	v_mov_b32_e32 v9, v0
	s_branch .LBB20_29
.LBB20_28:                              ;   in Loop: Header=BB20_29 Depth=3
	s_or_b32 exec_lo, exec_lo, s43
	v_add_nc_u32_e32 v9, 64, v9
	v_add_nc_u32_e32 v34, s35, v34
	s_delay_alu instid0(VALU_DEP_2) | instskip(SKIP_1) | instid1(SALU_CYCLE_1)
	v_cmp_le_i32_e32 vcc_lo, s14, v9
	s_or_b32 s42, vcc_lo, s42
	s_and_not1_b32 exec_lo, exec_lo, s42
	s_cbranch_execz .LBB20_22
.LBB20_29:                              ;   Parent Loop BB20_16 Depth=1
                                        ;     Parent Loop BB20_24 Depth=2
                                        ; =>    This Loop Header: Depth=3
                                        ;         Child Loop BB20_39 Depth 4
	s_delay_alu instid0(VALU_DEP_1)
	v_add_nc_u32_e32 v15, v9, v33
	s_and_b32 vcc_lo, exec_lo, s28
	s_cbranch_vccz .LBB20_50
; %bb.30:                               ;   in Loop: Header=BB20_29 Depth=3
	v_add_nc_u32_e32 v16, v9, v33
	v_add_nc_u32_e32 v19, v9, v27
	s_cbranch_execnz .LBB20_32
.LBB20_31:                              ;   in Loop: Header=BB20_29 Depth=3
	s_delay_alu instid0(VALU_DEP_1)
	v_mad_u64_u32 v[16:17], null, v19, s14, v[5:6]
.LBB20_32:                              ;   in Loop: Header=BB20_29 Depth=3
	s_delay_alu instid0(VALU_DEP_1) | instskip(NEXT) | instid1(VALU_DEP_1)
	v_ashrrev_i32_e32 v17, 31, v16
	v_lshlrev_b64 v[16:17], 3, v[16:17]
	s_delay_alu instid0(VALU_DEP_1) | instskip(NEXT) | instid1(VALU_DEP_2)
	v_add_co_u32 v16, vcc_lo, s8, v16
	v_add_co_ci_u32_e32 v17, vcc_lo, s9, v17, vcc_lo
	s_and_b32 vcc_lo, exec_lo, s28
	global_load_b64 v[17:18], v[16:17], off
	s_cbranch_vccz .LBB20_51
; %bb.33:                               ;   in Loop: Header=BB20_29 Depth=3
	s_cbranch_execnz .LBB20_35
.LBB20_34:                              ;   in Loop: Header=BB20_29 Depth=3
	v_mad_u64_u32 v[15:16], null, v19, s14, v[5:6]
.LBB20_35:                              ;   in Loop: Header=BB20_29 Depth=3
	s_waitcnt vmcnt(0)
	v_mul_f32_e64 v20, v14, -v17
	s_delay_alu instid0(VALU_DEP_2) | instskip(NEXT) | instid1(VALU_DEP_2)
	v_ashrrev_i32_e32 v16, 31, v15
	v_fmac_f32_e32 v20, v18, v13
	v_mul_f32_e32 v19, v14, v18
	s_delay_alu instid0(VALU_DEP_1) | instskip(NEXT) | instid1(VALU_DEP_4)
	v_fmac_f32_e32 v19, v17, v13
	v_lshlrev_b64 v[17:18], 3, v[15:16]
	s_delay_alu instid0(VALU_DEP_2) | instskip(SKIP_1) | instid1(VALU_DEP_3)
	v_mul_f32_e32 v15, v35, v19
	v_mul_f32_e32 v16, v35, v20
	v_add_co_u32 v17, vcc_lo, s8, v17
	s_delay_alu instid0(VALU_DEP_4)
	v_add_co_ci_u32_e32 v18, vcc_lo, s9, v18, vcc_lo
	global_store_b64 v[17:18], v[15:16], off
	s_and_saveexec_b32 s43, s4
	s_cbranch_execz .LBB20_28
; %bb.36:                               ;   in Loop: Header=BB20_29 Depth=3
	v_mov_b32_e32 v36, v31
	s_mov_b32 s44, 0
	s_branch .LBB20_39
.LBB20_37:                              ;   in Loop: Header=BB20_39 Depth=4
	v_mov_b32_e32 v19, v38
.LBB20_38:                              ;   in Loop: Header=BB20_39 Depth=4
	s_delay_alu instid0(VALU_DEP_1)
	v_ashrrev_i32_e32 v20, 31, v19
	s_waitcnt vmcnt(0)
	v_fma_f32 v21, -v15, v17, v21
	v_fma_f32 v17, -v16, v17, v22
	v_add_nc_u32_e32 v36, 1, v36
	v_lshlrev_b64 v[19:20], 3, v[19:20]
	s_delay_alu instid0(VALU_DEP_4) | instskip(NEXT) | instid1(VALU_DEP_4)
	v_fmac_f32_e32 v21, v16, v18
	v_fma_f32 v22, -v15, v18, v17
	s_delay_alu instid0(VALU_DEP_4) | instskip(NEXT) | instid1(VALU_DEP_4)
	v_cmp_le_i32_e32 vcc_lo, s14, v36
	v_add_co_u32 v17, s5, s8, v19
	s_delay_alu instid0(VALU_DEP_1)
	v_add_co_ci_u32_e64 v18, s5, s9, v20, s5
	s_or_b32 s44, vcc_lo, s44
	global_store_b64 v[17:18], v[21:22], off
	s_and_not1_b32 exec_lo, exec_lo, s44
	s_cbranch_execz .LBB20_28
.LBB20_39:                              ;   Parent Loop BB20_16 Depth=1
                                        ;     Parent Loop BB20_24 Depth=2
                                        ;       Parent Loop BB20_29 Depth=3
                                        ; =>      This Inner Loop Header: Depth=4
	s_and_b32 vcc_lo, exec_lo, s28
	s_cbranch_vccz .LBB20_47
; %bb.40:                               ;   in Loop: Header=BB20_39 Depth=4
	v_add_nc_u32_e32 v19, v36, v30
	s_delay_alu instid0(VALU_DEP_1)
	v_mad_u64_u32 v[17:18], null, v19, s14, v[5:6]
	s_cbranch_execnz .LBB20_42
.LBB20_41:                              ;   in Loop: Header=BB20_39 Depth=4
	v_add_nc_u32_e32 v17, v32, v36
.LBB20_42:                              ;   in Loop: Header=BB20_39 Depth=4
	s_delay_alu instid0(VALU_DEP_1) | instskip(SKIP_1) | instid1(VALU_DEP_2)
	v_ashrrev_i32_e32 v18, 31, v17
	v_add_nc_u32_e32 v37, v36, v27
	v_lshlrev_b64 v[17:18], 3, v[17:18]
	s_delay_alu instid0(VALU_DEP_1) | instskip(NEXT) | instid1(VALU_DEP_2)
	v_add_co_u32 v17, vcc_lo, s8, v17
	v_add_co_ci_u32_e32 v18, vcc_lo, s9, v18, vcc_lo
	s_and_b32 vcc_lo, exec_lo, s28
	global_load_b64 v[17:18], v[17:18], off
	s_cbranch_vccz .LBB20_48
; %bb.43:                               ;   in Loop: Header=BB20_39 Depth=4
	v_mad_u64_u32 v[19:20], null, v37, s14, v[9:10]
	v_add_nc_u32_e32 v38, v34, v36
	s_cbranch_execnz .LBB20_45
.LBB20_44:                              ;   in Loop: Header=BB20_39 Depth=4
	v_add_nc_u32_e32 v19, v34, v36
.LBB20_45:                              ;   in Loop: Header=BB20_39 Depth=4
	s_delay_alu instid0(VALU_DEP_1) | instskip(NEXT) | instid1(VALU_DEP_1)
	v_ashrrev_i32_e32 v20, 31, v19
	v_lshlrev_b64 v[19:20], 3, v[19:20]
	s_delay_alu instid0(VALU_DEP_1) | instskip(NEXT) | instid1(VALU_DEP_2)
	v_add_co_u32 v19, vcc_lo, s8, v19
	v_add_co_ci_u32_e32 v20, vcc_lo, s9, v20, vcc_lo
	s_and_b32 vcc_lo, exec_lo, s28
	global_load_b64 v[21:22], v[19:20], off
	s_cbranch_vccz .LBB20_49
; %bb.46:                               ;   in Loop: Header=BB20_39 Depth=4
	v_mad_u64_u32 v[19:20], null, v37, s14, v[9:10]
	s_cbranch_execnz .LBB20_38
	s_branch .LBB20_37
.LBB20_47:                              ;   in Loop: Header=BB20_39 Depth=4
                                        ; implicit-def: $vgpr17
	s_branch .LBB20_41
.LBB20_48:                              ;   in Loop: Header=BB20_39 Depth=4
                                        ; implicit-def: $vgpr19
	v_add_nc_u32_e32 v38, v34, v36
	s_branch .LBB20_44
.LBB20_49:                              ;   in Loop: Header=BB20_39 Depth=4
                                        ; implicit-def: $vgpr19
	s_branch .LBB20_37
.LBB20_50:                              ;   in Loop: Header=BB20_29 Depth=3
                                        ; implicit-def: $vgpr16
	v_add_nc_u32_e32 v19, v9, v27
	s_branch .LBB20_31
.LBB20_51:                              ;   in Loop: Header=BB20_29 Depth=3
                                        ; implicit-def: $vgpr15
	s_branch .LBB20_34
.LBB20_52:                              ;   in Loop: Header=BB20_16 Depth=1
	s_or_b32 exec_lo, exec_lo, s40
.LBB20_53:                              ;   in Loop: Header=BB20_16 Depth=1
	v_subrev_nc_u32_e32 v9, s24, v29
	v_add_nc_u32_e32 v13, 1, v28
	s_mov_b32 s4, exec_lo
	s_delay_alu instid0(VALU_DEP_1)
	v_cmpx_lt_i32_e64 v13, v9
	s_cbranch_execz .LBB20_14
; %bb.54:                               ;   in Loop: Header=BB20_16 Depth=1
	v_mul_lo_u32 v18, s34, v13
	s_mov_b32 s5, 0
	s_branch .LBB20_57
.LBB20_55:                              ;   in Loop: Header=BB20_57 Depth=2
	s_or_b32 exec_lo, exec_lo, s40
.LBB20_56:                              ;   in Loop: Header=BB20_57 Depth=2
	v_add_nc_u32_e32 v13, 1, v13
	v_add_nc_u32_e32 v18, s34, v18
	s_delay_alu instid0(VALU_DEP_2) | instskip(SKIP_1) | instid1(SALU_CYCLE_1)
	v_cmp_ge_i32_e32 vcc_lo, v13, v9
	s_or_b32 s5, vcc_lo, s5
	s_and_not1_b32 exec_lo, exec_lo, s5
	s_cbranch_execz .LBB20_14
.LBB20_57:                              ;   Parent Loop BB20_16 Depth=1
                                        ; =>  This Loop Header: Depth=2
                                        ;       Child Loop BB20_62 Depth 3
                                        ;       Child Loop BB20_69 Depth 3
                                        ;         Child Loop BB20_72 Depth 4
                                        ;           Child Loop BB20_74 Depth 5
	v_ashrrev_i32_e32 v14, 31, v13
	s_delay_alu instid0(VALU_DEP_1) | instskip(NEXT) | instid1(VALU_DEP_1)
	v_lshlrev_b64 v[14:15], 2, v[13:14]
	v_add_co_u32 v14, vcc_lo, s6, v14
	s_delay_alu instid0(VALU_DEP_2)
	v_add_co_ci_u32_e32 v15, vcc_lo, s7, v15, vcc_lo
	s_waitcnt lgkmcnt(0)
	global_load_b32 v5, v[14:15], off
	v_mov_b32_e32 v15, s21
	s_and_saveexec_b32 s40, s2
	s_cbranch_execz .LBB20_59
; %bb.58:                               ;   in Loop: Header=BB20_57 Depth=2
	global_load_b32 v14, v[11:12], off
	s_waitcnt vmcnt(0)
	v_subrev_nc_u32_e32 v15, s24, v14
.LBB20_59:                              ;   in Loop: Header=BB20_57 Depth=2
	s_or_b32 exec_lo, exec_lo, s40
	s_waitcnt vmcnt(0)
	v_subrev_nc_u32_e32 v5, s24, v5
	v_mov_b32_e32 v16, v10
	s_mov_b32 s40, exec_lo
	s_delay_alu instid0(VALU_DEP_2)
	v_cmpx_lt_i32_e64 v15, v5
	s_cbranch_execz .LBB20_65
; %bb.60:                               ;   in Loop: Header=BB20_57 Depth=2
	v_mov_b32_e32 v14, v10
	s_mov_b32 s41, 0
	s_branch .LBB20_62
	.p2align	6
.LBB20_61:                              ;   in Loop: Header=BB20_62 Depth=3
	s_or_b32 exec_lo, exec_lo, s42
	s_delay_alu instid0(VALU_DEP_1) | instskip(SKIP_2) | instid1(SALU_CYCLE_1)
	v_cmp_ge_i32_e32 vcc_lo, v15, v5
	v_mov_b32_e32 v14, v16
	s_or_b32 s41, vcc_lo, s41
	s_and_not1_b32 exec_lo, exec_lo, s41
	s_cbranch_execz .LBB20_64
.LBB20_62:                              ;   Parent Loop BB20_16 Depth=1
                                        ;     Parent Loop BB20_57 Depth=2
                                        ; =>    This Inner Loop Header: Depth=3
	s_delay_alu instid0(VALU_DEP_1) | instskip(SKIP_1) | instid1(VALU_DEP_1)
	v_dual_mov_b32 v15, s21 :: v_dual_add_nc_u32 v16, 64, v14
	s_mov_b32 s42, exec_lo
	v_cmpx_lt_i32_e64 v16, v23
	s_cbranch_execz .LBB20_61
; %bb.63:                               ;   in Loop: Header=BB20_62 Depth=3
	v_ashrrev_i32_e32 v15, 31, v14
	s_delay_alu instid0(VALU_DEP_1) | instskip(NEXT) | instid1(VALU_DEP_1)
	v_lshlrev_b64 v[14:15], 2, v[14:15]
	v_add_co_u32 v14, vcc_lo, s31, v14
	s_delay_alu instid0(VALU_DEP_2)
	v_add_co_ci_u32_e32 v15, vcc_lo, s33, v15, vcc_lo
	global_load_b32 v14, v[14:15], off
	s_waitcnt vmcnt(0)
	v_subrev_nc_u32_e32 v15, s24, v14
	s_branch .LBB20_61
.LBB20_64:                              ;   in Loop: Header=BB20_57 Depth=2
	s_or_b32 exec_lo, exec_lo, s41
.LBB20_65:                              ;   in Loop: Header=BB20_57 Depth=2
	s_delay_alu instid0(SALU_CYCLE_1)
	s_or_b32 exec_lo, exec_lo, s40
	v_cmp_eq_u32_e32 vcc_lo, v15, v5
	s_cbranch_vccz .LBB20_56
; %bb.66:                               ;   in Loop: Header=BB20_57 Depth=2
	s_ctz_i32_b32 s40, vcc_lo
	s_delay_alu instid0(SALU_CYCLE_1) | instskip(NEXT) | instid1(SALU_CYCLE_1)
	s_lshl_b32 s40, s40, 2
	v_mov_b32_e32 v5, s40
	ds_bpermute_b32 v5, v5, v16
	s_and_saveexec_b32 s40, s0
	s_cbranch_execz .LBB20_55
; %bb.67:                               ;   in Loop: Header=BB20_57 Depth=2
	v_mul_lo_u32 v19, v13, s14
	s_waitcnt lgkmcnt(0)
	v_mul_lo_u32 v20, v5, s14
	v_mov_b32_e32 v21, v26
	v_mov_b32_e32 v5, v0
	s_mov_b32 s41, 0
	s_branch .LBB20_69
.LBB20_68:                              ;   in Loop: Header=BB20_69 Depth=3
	v_add_nc_u32_e32 v5, 64, v5
	v_add_nc_u32_e32 v21, s35, v21
	s_delay_alu instid0(VALU_DEP_2) | instskip(SKIP_1) | instid1(SALU_CYCLE_1)
	v_cmp_le_i32_e32 vcc_lo, s14, v5
	s_or_b32 s41, vcc_lo, s41
	s_and_not1_b32 exec_lo, exec_lo, s41
	s_cbranch_execz .LBB20_55
.LBB20_69:                              ;   Parent Loop BB20_16 Depth=1
                                        ;     Parent Loop BB20_57 Depth=2
                                        ; =>    This Loop Header: Depth=3
                                        ;         Child Loop BB20_72 Depth 4
                                        ;           Child Loop BB20_74 Depth 5
	s_delay_alu instid0(VALU_DEP_1) | instskip(SKIP_2) | instid1(VALU_DEP_2)
	v_add_nc_u32_e32 v14, v5, v20
	v_mov_b32_e32 v28, v18
	s_mov_b32 s42, 0
	v_mul_lo_u32 v22, v14, s14
	s_branch .LBB20_72
.LBB20_70:                              ;   in Loop: Header=BB20_72 Depth=4
	v_add_nc_u32_e32 v14, s42, v22
.LBB20_71:                              ;   in Loop: Header=BB20_72 Depth=4
	s_delay_alu instid0(VALU_DEP_1) | instskip(SKIP_2) | instid1(SALU_CYCLE_1)
	v_ashrrev_i32_e32 v15, 31, v14
	v_add_nc_u32_e32 v28, 1, v28
	s_add_i32 s42, s42, 1
	s_cmp_eq_u32 s42, s14
	s_delay_alu instid0(VALU_DEP_2) | instskip(NEXT) | instid1(VALU_DEP_1)
	v_lshlrev_b64 v[14:15], 3, v[14:15]
	v_add_co_u32 v14, vcc_lo, s8, v14
	s_delay_alu instid0(VALU_DEP_2)
	v_add_co_ci_u32_e32 v15, vcc_lo, s9, v15, vcc_lo
	global_load_b64 v[16:17], v[14:15], off
	s_waitcnt vmcnt(0)
	v_dual_sub_f32 v16, v16, v29 :: v_dual_sub_f32 v17, v17, v30
	global_store_b64 v[14:15], v[16:17], off
	s_cbranch_scc1 .LBB20_68
.LBB20_72:                              ;   Parent Loop BB20_16 Depth=1
                                        ;     Parent Loop BB20_57 Depth=2
                                        ;       Parent Loop BB20_69 Depth=3
                                        ; =>      This Loop Header: Depth=4
                                        ;           Child Loop BB20_74 Depth 5
	v_dual_mov_b32 v29, 0 :: v_dual_add_nc_u32 v14, s42, v19
	v_mov_b32_e32 v32, v28
	v_mov_b32_e32 v30, 0
	s_mov_b32 s43, 0
	s_delay_alu instid0(VALU_DEP_3)
	v_mul_lo_u32 v31, v14, s14
	s_set_inst_prefetch_distance 0x1
	s_branch .LBB20_74
	.p2align	6
.LBB20_73:                              ;   in Loop: Header=BB20_74 Depth=5
	s_delay_alu instid0(VALU_DEP_1) | instskip(SKIP_2) | instid1(SALU_CYCLE_1)
	v_ashrrev_i32_e32 v17, 31, v16
	v_add_nc_u32_e32 v32, s14, v32
	s_add_i32 s43, s43, 1
	s_cmp_eq_u32 s14, s43
	s_delay_alu instid0(VALU_DEP_2) | instskip(NEXT) | instid1(VALU_DEP_1)
	v_lshlrev_b64 v[16:17], 3, v[16:17]
	v_add_co_u32 v16, vcc_lo, s8, v16
	s_delay_alu instid0(VALU_DEP_2) | instskip(SKIP_4) | instid1(VALU_DEP_2)
	v_add_co_ci_u32_e32 v17, vcc_lo, s9, v17, vcc_lo
	global_load_b64 v[16:17], v[16:17], off
	s_waitcnt vmcnt(0)
	v_fmac_f32_e32 v29, v14, v16
	v_fmac_f32_e32 v30, v15, v16
	v_fma_f32 v29, -v15, v17, v29
	s_delay_alu instid0(VALU_DEP_2)
	v_fmac_f32_e32 v30, v14, v17
	s_cbranch_scc1 .LBB20_80
.LBB20_74:                              ;   Parent Loop BB20_16 Depth=1
                                        ;     Parent Loop BB20_57 Depth=2
                                        ;       Parent Loop BB20_69 Depth=3
                                        ;         Parent Loop BB20_72 Depth=4
                                        ; =>        This Inner Loop Header: Depth=5
	s_and_b32 vcc_lo, exec_lo, s28
	s_cbranch_vccz .LBB20_79
; %bb.75:                               ;   in Loop: Header=BB20_74 Depth=5
	v_add_nc_u32_e32 v16, s43, v27
	s_delay_alu instid0(VALU_DEP_1)
	v_mad_u64_u32 v[14:15], null, v16, s14, v[5:6]
	s_cbranch_execnz .LBB20_77
.LBB20_76:                              ;   in Loop: Header=BB20_74 Depth=5
	v_add_nc_u32_e32 v14, s43, v21
.LBB20_77:                              ;   in Loop: Header=BB20_74 Depth=5
	s_delay_alu instid0(VALU_DEP_1) | instskip(SKIP_1) | instid1(VALU_DEP_2)
	v_ashrrev_i32_e32 v15, 31, v14
	v_mov_b32_e32 v16, v32
	v_lshlrev_b64 v[14:15], 3, v[14:15]
	s_delay_alu instid0(VALU_DEP_1) | instskip(NEXT) | instid1(VALU_DEP_2)
	v_add_co_u32 v14, vcc_lo, s8, v14
	v_add_co_ci_u32_e32 v15, vcc_lo, s9, v15, vcc_lo
	s_and_not1_b32 vcc_lo, exec_lo, s28
	global_load_b64 v[14:15], v[14:15], off
	s_cbranch_vccnz .LBB20_73
; %bb.78:                               ;   in Loop: Header=BB20_74 Depth=5
	v_add_nc_u32_e32 v16, s43, v31
	s_branch .LBB20_73
.LBB20_79:                              ;   in Loop: Header=BB20_74 Depth=5
                                        ; implicit-def: $vgpr14
	s_branch .LBB20_76
.LBB20_80:                              ;   in Loop: Header=BB20_72 Depth=4
	s_set_inst_prefetch_distance 0x2
	s_and_b32 vcc_lo, exec_lo, s28
	s_cbranch_vccz .LBB20_82
; %bb.81:                               ;   in Loop: Header=BB20_72 Depth=4
	v_add_nc_u32_e32 v16, s42, v20
	s_delay_alu instid0(VALU_DEP_1)
	v_mad_u64_u32 v[14:15], null, v16, s14, v[5:6]
	s_cbranch_execnz .LBB20_71
	s_branch .LBB20_70
.LBB20_82:                              ;   in Loop: Header=BB20_72 Depth=4
                                        ; implicit-def: $vgpr14
	s_branch .LBB20_70
.LBB20_83:
	s_or_b32 exec_lo, exec_lo, s36
	s_delay_alu instid0(SALU_CYCLE_1)
	s_and_b32 s3, s37, exec_lo
.LBB20_84:
	s_or_b32 exec_lo, exec_lo, s22
	s_waitcnt lgkmcnt(0)
	v_ashrrev_i32_e32 v5, 31, v4
	s_cmp_gt_i32 s14, 0
	s_cselect_b32 s4, -1, 0
	s_delay_alu instid0(VALU_DEP_1) | instskip(NEXT) | instid1(VALU_DEP_1)
	v_lshlrev_b64 v[8:9], 2, v[4:5]
	v_add_co_u32 v8, vcc_lo, s6, v8
	s_delay_alu instid0(VALU_DEP_2) | instskip(SKIP_4) | instid1(VALU_DEP_1)
	v_add_co_ci_u32_e32 v9, vcc_lo, s7, v9, vcc_lo
	s_mov_b32 s6, 0
	global_load_b32 v5, v[8:9], off
	s_waitcnt vmcnt(0)
	v_subrev_nc_u32_e32 v5, s24, v5
	v_cmp_eq_u32_e32 vcc_lo, v5, v1
	s_and_b32 s0, s4, vcc_lo
	s_delay_alu instid0(SALU_CYCLE_1)
	s_and_saveexec_b32 s5, s0
	s_cbranch_execz .LBB20_130
; %bb.85:
	v_cvt_f64_f32_e32 v[8:9], v25
	v_mul_lo_u32 v19, v4, s14
	s_cmp_eq_u64 s[16:17], 8
	v_cmp_eq_u32_e64 s0, 0, v0
	s_cselect_b32 vcc_lo, -1, 0
	v_mov_b32_e32 v5, 0
	s_cmp_lg_u32 s20, 0
	s_mov_b32 s16, s3
	s_cselect_b32 s7, -1, 0
	v_add3_u32 v20, v19, v0, 1
	s_lshl_b32 s10, s14, 6
                                        ; implicit-def: $sgpr11
	v_dual_cndmask_b32 v7, v9, v7 :: v_dual_cndmask_b32 v6, v8, v6
	s_branch .LBB20_87
.LBB20_86:                              ;   in Loop: Header=BB20_87 Depth=1
	s_or_b32 exec_lo, exec_lo, s1
	s_delay_alu instid0(VALU_DEP_1) | instskip(SKIP_4) | instid1(SALU_CYCLE_1)
	v_cmp_eq_u32_e32 vcc_lo, s14, v22
	v_mov_b32_e32 v5, v22
	s_or_b32 s6, vcc_lo, s6
	s_and_not1_b32 s1, s11, exec_lo
	s_and_b32 s2, s16, exec_lo
	s_or_b32 s11, s1, s2
	s_and_not1_b32 exec_lo, exec_lo, s6
	s_cbranch_execz .LBB20_129
.LBB20_87:                              ; =>This Loop Header: Depth=1
                                        ;     Child Loop BB20_103 Depth 2
                                        ;       Child Loop BB20_113 Depth 3
	v_add_nc_u32_e32 v8, v5, v19
	s_mov_b32 s17, 0
	s_delay_alu instid0(VALU_DEP_1) | instskip(NEXT) | instid1(VALU_DEP_1)
	v_mul_lo_u32 v21, v8, s14
	v_add_nc_u32_e32 v8, v21, v5
	s_delay_alu instid0(VALU_DEP_1) | instskip(NEXT) | instid1(VALU_DEP_1)
	v_ashrrev_i32_e32 v9, 31, v8
	v_lshlrev_b64 v[8:9], 3, v[8:9]
	s_delay_alu instid0(VALU_DEP_1) | instskip(NEXT) | instid1(VALU_DEP_2)
	v_add_co_u32 v10, vcc_lo, s8, v8
	v_add_co_ci_u32_e32 v11, vcc_lo, s9, v9, vcc_lo
	v_cmp_ne_u32_e32 vcc_lo, 1, v24
	global_load_b64 v[8:9], v[10:11], off
	s_cbranch_vccnz .LBB20_98
; %bb.88:                               ;   in Loop: Header=BB20_87 Depth=1
	s_waitcnt vmcnt(0)
	v_cmp_gt_f32_e32 vcc_lo, 0, v8
                                        ; implicit-def: $vgpr14
	s_mov_b32 s1, exec_lo
	v_cndmask_b32_e64 v12, v8, -v8, vcc_lo
	v_cmp_gt_f32_e32 vcc_lo, 0, v9
	v_cndmask_b32_e64 v13, v9, -v9, vcc_lo
	s_delay_alu instid0(VALU_DEP_1)
	v_cmpx_ngt_f32_e32 v12, v13
	s_xor_b32 s2, exec_lo, s1
	s_cbranch_execz .LBB20_92
; %bb.89:                               ;   in Loop: Header=BB20_87 Depth=1
	v_mov_b32_e32 v14, 0
	s_mov_b32 s21, exec_lo
	v_cmpx_neq_f32_e32 0, v9
	s_cbranch_execz .LBB20_91
; %bb.90:                               ;   in Loop: Header=BB20_87 Depth=1
	v_div_scale_f32 v14, null, v13, v13, v12
	v_div_scale_f32 v17, vcc_lo, v12, v13, v12
	s_delay_alu instid0(VALU_DEP_2) | instskip(SKIP_2) | instid1(VALU_DEP_1)
	v_rcp_f32_e32 v15, v14
	s_waitcnt_depctr 0xfff
	v_fma_f32 v16, -v14, v15, 1.0
	v_fmac_f32_e32 v15, v16, v15
	s_delay_alu instid0(VALU_DEP_1) | instskip(NEXT) | instid1(VALU_DEP_1)
	v_mul_f32_e32 v16, v17, v15
	v_fma_f32 v18, -v14, v16, v17
	s_delay_alu instid0(VALU_DEP_1) | instskip(NEXT) | instid1(VALU_DEP_1)
	v_fmac_f32_e32 v16, v18, v15
	v_fma_f32 v14, -v14, v16, v17
	s_delay_alu instid0(VALU_DEP_1) | instskip(NEXT) | instid1(VALU_DEP_1)
	v_div_fmas_f32 v14, v14, v15, v16
	v_div_fixup_f32 v12, v14, v13, v12
	s_delay_alu instid0(VALU_DEP_1) | instskip(NEXT) | instid1(VALU_DEP_1)
	v_fma_f32 v12, v12, v12, 1.0
	v_mul_f32_e32 v14, 0x4f800000, v12
	v_cmp_gt_f32_e32 vcc_lo, 0xf800000, v12
	s_delay_alu instid0(VALU_DEP_2) | instskip(NEXT) | instid1(VALU_DEP_1)
	v_cndmask_b32_e32 v12, v12, v14, vcc_lo
	v_sqrt_f32_e32 v14, v12
	s_waitcnt_depctr 0xfff
	v_add_nc_u32_e32 v15, -1, v14
	v_add_nc_u32_e32 v16, 1, v14
	s_delay_alu instid0(VALU_DEP_2) | instskip(NEXT) | instid1(VALU_DEP_2)
	v_fma_f32 v17, -v15, v14, v12
	v_fma_f32 v18, -v16, v14, v12
	s_delay_alu instid0(VALU_DEP_2) | instskip(NEXT) | instid1(VALU_DEP_1)
	v_cmp_ge_f32_e64 s1, 0, v17
	v_cndmask_b32_e64 v14, v14, v15, s1
	s_delay_alu instid0(VALU_DEP_3) | instskip(NEXT) | instid1(VALU_DEP_1)
	v_cmp_lt_f32_e64 s1, 0, v18
	v_cndmask_b32_e64 v14, v14, v16, s1
	s_delay_alu instid0(VALU_DEP_1) | instskip(NEXT) | instid1(VALU_DEP_1)
	v_mul_f32_e32 v15, 0x37800000, v14
	v_cndmask_b32_e32 v14, v14, v15, vcc_lo
	v_cmp_class_f32_e64 vcc_lo, v12, 0x260
	s_delay_alu instid0(VALU_DEP_2) | instskip(NEXT) | instid1(VALU_DEP_1)
	v_cndmask_b32_e32 v12, v14, v12, vcc_lo
	v_mul_f32_e32 v14, v13, v12
.LBB20_91:                              ;   in Loop: Header=BB20_87 Depth=1
	s_or_b32 exec_lo, exec_lo, s21
                                        ; implicit-def: $vgpr12
                                        ; implicit-def: $vgpr13
.LBB20_92:                              ;   in Loop: Header=BB20_87 Depth=1
	s_and_not1_saveexec_b32 s2, s2
	s_cbranch_execz .LBB20_94
; %bb.93:                               ;   in Loop: Header=BB20_87 Depth=1
	v_div_scale_f32 v14, null, v12, v12, v13
	v_div_scale_f32 v17, vcc_lo, v13, v12, v13
	s_delay_alu instid0(VALU_DEP_2) | instskip(SKIP_2) | instid1(VALU_DEP_1)
	v_rcp_f32_e32 v15, v14
	s_waitcnt_depctr 0xfff
	v_fma_f32 v16, -v14, v15, 1.0
	v_fmac_f32_e32 v15, v16, v15
	s_delay_alu instid0(VALU_DEP_1) | instskip(NEXT) | instid1(VALU_DEP_1)
	v_mul_f32_e32 v16, v17, v15
	v_fma_f32 v18, -v14, v16, v17
	s_delay_alu instid0(VALU_DEP_1) | instskip(NEXT) | instid1(VALU_DEP_1)
	v_fmac_f32_e32 v16, v18, v15
	v_fma_f32 v14, -v14, v16, v17
	s_delay_alu instid0(VALU_DEP_1) | instskip(NEXT) | instid1(VALU_DEP_1)
	v_div_fmas_f32 v14, v14, v15, v16
	v_div_fixup_f32 v13, v14, v12, v13
	s_delay_alu instid0(VALU_DEP_1) | instskip(NEXT) | instid1(VALU_DEP_1)
	v_fma_f32 v13, v13, v13, 1.0
	v_mul_f32_e32 v14, 0x4f800000, v13
	v_cmp_gt_f32_e32 vcc_lo, 0xf800000, v13
	s_delay_alu instid0(VALU_DEP_2) | instskip(NEXT) | instid1(VALU_DEP_1)
	v_cndmask_b32_e32 v13, v13, v14, vcc_lo
	v_sqrt_f32_e32 v14, v13
	s_waitcnt_depctr 0xfff
	v_add_nc_u32_e32 v15, -1, v14
	v_add_nc_u32_e32 v16, 1, v14
	s_delay_alu instid0(VALU_DEP_2) | instskip(NEXT) | instid1(VALU_DEP_2)
	v_fma_f32 v17, -v15, v14, v13
	v_fma_f32 v18, -v16, v14, v13
	s_delay_alu instid0(VALU_DEP_2) | instskip(NEXT) | instid1(VALU_DEP_1)
	v_cmp_ge_f32_e64 s1, 0, v17
	v_cndmask_b32_e64 v14, v14, v15, s1
	s_delay_alu instid0(VALU_DEP_3) | instskip(NEXT) | instid1(VALU_DEP_1)
	v_cmp_lt_f32_e64 s1, 0, v18
	v_cndmask_b32_e64 v14, v14, v16, s1
	s_delay_alu instid0(VALU_DEP_1) | instskip(NEXT) | instid1(VALU_DEP_1)
	v_mul_f32_e32 v15, 0x37800000, v14
	v_cndmask_b32_e32 v14, v14, v15, vcc_lo
	v_cmp_class_f32_e64 vcc_lo, v13, 0x260
	s_delay_alu instid0(VALU_DEP_2) | instskip(NEXT) | instid1(VALU_DEP_1)
	v_cndmask_b32_e32 v13, v14, v13, vcc_lo
	v_mul_f32_e32 v14, v12, v13
.LBB20_94:                              ;   in Loop: Header=BB20_87 Depth=1
	s_or_b32 exec_lo, exec_lo, s2
	s_delay_alu instid0(VALU_DEP_1) | instskip(NEXT) | instid1(VALU_DEP_1)
	v_cvt_f64_f32_e32 v[12:13], v14
	v_cmp_ge_f64_e32 vcc_lo, v[6:7], v[12:13]
	v_cndmask_b32_e64 v12, v8, s25, vcc_lo
	v_cndmask_b32_e64 v13, v9, s26, vcc_lo
	s_and_saveexec_b32 s1, s0
	s_cbranch_execz .LBB20_96
; %bb.95:                               ;   in Loop: Header=BB20_87 Depth=1
	global_store_b64 v[10:11], v[12:13], off
.LBB20_96:                              ;   in Loop: Header=BB20_87 Depth=1
	s_or_b32 exec_lo, exec_lo, s1
	s_mov_b32 s2, -1
.LBB20_97:                              ;   in Loop: Header=BB20_87 Depth=1
	s_waitcnt vmcnt(0)
	v_dual_mov_b32 v8, v12 :: v_dual_mov_b32 v9, v13
                                        ; implicit-def: $sgpr1
                                        ; implicit-def: $vgpr22
	s_and_saveexec_b32 s21, s2
	s_delay_alu instid0(SALU_CYCLE_1)
	s_xor_b32 s21, exec_lo, s21
	s_cbranch_execz .LBB20_127
	s_branch .LBB20_100
.LBB20_98:                              ;   in Loop: Header=BB20_87 Depth=1
	s_mov_b32 s2, 0
                                        ; implicit-def: $vgpr12
	s_cbranch_execz .LBB20_97
; %bb.99:                               ;   in Loop: Header=BB20_87 Depth=1
	s_waitcnt vmcnt(0)
	v_cmp_neq_f32_e32 vcc_lo, 0, v8
	v_cmp_neq_f32_e64 s1, 0, v9
	s_and_not1_b32 s2, s2, exec_lo
	s_mov_b32 s17, -1
	s_delay_alu instid0(VALU_DEP_1) | instskip(NEXT) | instid1(SALU_CYCLE_1)
	s_or_b32 s1, vcc_lo, s1
	s_and_b32 s1, s1, exec_lo
	s_delay_alu instid0(SALU_CYCLE_1) | instskip(NEXT) | instid1(SALU_CYCLE_1)
	s_or_b32 s2, s2, s1
                                        ; implicit-def: $sgpr1
                                        ; implicit-def: $vgpr22
	s_and_saveexec_b32 s21, s2
	s_delay_alu instid0(SALU_CYCLE_1)
	s_xor_b32 s21, exec_lo, s21
	s_cbranch_execz .LBB20_127
.LBB20_100:                             ;   in Loop: Header=BB20_87 Depth=1
	v_add_nc_u32_e32 v22, 1, v5
	s_mov_b32 s22, exec_lo
	s_delay_alu instid0(VALU_DEP_1) | instskip(NEXT) | instid1(VALU_DEP_1)
	v_add_nc_u32_e32 v10, v22, v0
	v_cmpx_gt_i32_e64 s14, v10
	s_cbranch_execz .LBB20_126
; %bb.101:                              ;   in Loop: Header=BB20_87 Depth=1
	v_mul_f32_e32 v11, v9, v9
	v_cmp_gt_i32_e64 s1, s14, v22
	s_mov_b32 s23, 0
	s_delay_alu instid0(VALU_DEP_2) | instskip(NEXT) | instid1(VALU_DEP_1)
	v_fmac_f32_e32 v11, v8, v8
	v_div_scale_f32 v12, null, v11, v11, 1.0
	v_div_scale_f32 v15, vcc_lo, 1.0, v11, 1.0
	s_delay_alu instid0(VALU_DEP_2) | instskip(SKIP_2) | instid1(VALU_DEP_1)
	v_rcp_f32_e32 v13, v12
	s_waitcnt_depctr 0xfff
	v_fma_f32 v14, -v12, v13, 1.0
	v_fmac_f32_e32 v13, v14, v13
	s_delay_alu instid0(VALU_DEP_1) | instskip(NEXT) | instid1(VALU_DEP_1)
	v_mul_f32_e32 v14, v15, v13
	v_fma_f32 v16, -v12, v14, v15
	s_delay_alu instid0(VALU_DEP_1) | instskip(NEXT) | instid1(VALU_DEP_1)
	v_fmac_f32_e32 v14, v16, v13
	v_fma_f32 v12, -v12, v14, v15
	v_add_nc_u32_e32 v15, v20, v5
	s_delay_alu instid0(VALU_DEP_2) | instskip(NEXT) | instid1(VALU_DEP_2)
	v_div_fmas_f32 v12, v12, v13, v14
	v_mul_lo_u32 v25, s14, v15
	s_delay_alu instid0(VALU_DEP_2)
	v_div_fixup_f32 v26, v12, v11, 1.0
	s_branch .LBB20_103
.LBB20_102:                             ;   in Loop: Header=BB20_103 Depth=2
	s_or_b32 exec_lo, exec_lo, s27
	v_add_nc_u32_e32 v10, 64, v10
	v_add_nc_u32_e32 v25, s10, v25
	s_delay_alu instid0(VALU_DEP_2) | instskip(SKIP_1) | instid1(SALU_CYCLE_1)
	v_cmp_le_i32_e32 vcc_lo, s14, v10
	s_or_b32 s23, vcc_lo, s23
	s_and_not1_b32 exec_lo, exec_lo, s23
	s_cbranch_execz .LBB20_126
.LBB20_103:                             ;   Parent Loop BB20_87 Depth=1
                                        ; =>  This Loop Header: Depth=2
                                        ;       Child Loop BB20_113 Depth 3
	v_add_nc_u32_e32 v11, v10, v21
	s_and_b32 vcc_lo, exec_lo, s7
	s_cbranch_vccz .LBB20_124
; %bb.104:                              ;   in Loop: Header=BB20_103 Depth=2
	v_add_nc_u32_e32 v12, v10, v21
	s_cbranch_execnz .LBB20_106
.LBB20_105:                             ;   in Loop: Header=BB20_103 Depth=2
	v_add_nc_u32_e32 v14, v10, v19
	s_delay_alu instid0(VALU_DEP_1)
	v_mad_u64_u32 v[12:13], null, v14, s14, v[5:6]
.LBB20_106:                             ;   in Loop: Header=BB20_103 Depth=2
	s_delay_alu instid0(VALU_DEP_1) | instskip(NEXT) | instid1(VALU_DEP_1)
	v_ashrrev_i32_e32 v13, 31, v12
	v_lshlrev_b64 v[12:13], 3, v[12:13]
	s_delay_alu instid0(VALU_DEP_1) | instskip(NEXT) | instid1(VALU_DEP_2)
	v_add_co_u32 v12, vcc_lo, s8, v12
	v_add_co_ci_u32_e32 v13, vcc_lo, s9, v13, vcc_lo
	s_and_b32 vcc_lo, exec_lo, s7
	global_load_b64 v[13:14], v[12:13], off
	s_cbranch_vccz .LBB20_125
; %bb.107:                              ;   in Loop: Header=BB20_103 Depth=2
	s_cbranch_execnz .LBB20_109
.LBB20_108:                             ;   in Loop: Header=BB20_103 Depth=2
	v_add_nc_u32_e32 v15, v10, v19
	s_delay_alu instid0(VALU_DEP_1)
	v_mad_u64_u32 v[11:12], null, v15, s14, v[5:6]
.LBB20_109:                             ;   in Loop: Header=BB20_103 Depth=2
	s_waitcnt vmcnt(0)
	v_mul_f32_e64 v16, v9, -v13
	v_mul_f32_e32 v15, v9, v14
	s_delay_alu instid0(VALU_DEP_3) | instskip(NEXT) | instid1(VALU_DEP_3)
	v_ashrrev_i32_e32 v12, 31, v11
	v_fmac_f32_e32 v16, v14, v8
	s_delay_alu instid0(VALU_DEP_3) | instskip(NEXT) | instid1(VALU_DEP_3)
	v_fmac_f32_e32 v15, v13, v8
	v_lshlrev_b64 v[13:14], 3, v[11:12]
	s_delay_alu instid0(VALU_DEP_3) | instskip(NEXT) | instid1(VALU_DEP_3)
	v_mul_f32_e32 v12, v26, v16
	v_mul_f32_e32 v11, v26, v15
	s_delay_alu instid0(VALU_DEP_3) | instskip(NEXT) | instid1(VALU_DEP_4)
	v_add_co_u32 v13, vcc_lo, s8, v13
	v_add_co_ci_u32_e32 v14, vcc_lo, s9, v14, vcc_lo
	global_store_b64 v[13:14], v[11:12], off
	s_and_saveexec_b32 s27, s1
	s_cbranch_execz .LBB20_102
; %bb.110:                              ;   in Loop: Header=BB20_103 Depth=2
	v_mov_b32_e32 v27, v22
	s_mov_b32 s28, 0
	s_branch .LBB20_113
.LBB20_111:                             ;   in Loop: Header=BB20_113 Depth=3
	v_add_nc_u32_e32 v15, v25, v27
.LBB20_112:                             ;   in Loop: Header=BB20_113 Depth=3
	s_delay_alu instid0(VALU_DEP_1)
	v_ashrrev_i32_e32 v16, 31, v15
	s_waitcnt vmcnt(0)
	v_fma_f32 v17, -v11, v13, v17
	v_fma_f32 v13, -v12, v13, v18
	v_add_nc_u32_e32 v27, 1, v27
	v_lshlrev_b64 v[15:16], 3, v[15:16]
	s_delay_alu instid0(VALU_DEP_4) | instskip(NEXT) | instid1(VALU_DEP_4)
	v_fmac_f32_e32 v17, v12, v14
	v_fma_f32 v18, -v11, v14, v13
	s_delay_alu instid0(VALU_DEP_4) | instskip(NEXT) | instid1(VALU_DEP_4)
	v_cmp_le_i32_e32 vcc_lo, s14, v27
	v_add_co_u32 v13, s2, s8, v15
	s_delay_alu instid0(VALU_DEP_1)
	v_add_co_ci_u32_e64 v14, s2, s9, v16, s2
	s_or_b32 s28, vcc_lo, s28
	global_store_b64 v[13:14], v[17:18], off
	s_and_not1_b32 exec_lo, exec_lo, s28
	s_cbranch_execz .LBB20_102
.LBB20_113:                             ;   Parent Loop BB20_87 Depth=1
                                        ;     Parent Loop BB20_103 Depth=2
                                        ; =>    This Inner Loop Header: Depth=3
	s_delay_alu instid0(VALU_DEP_1)
	v_add_nc_u32_e32 v28, v27, v19
	s_and_b32 vcc_lo, exec_lo, s7
	s_cbranch_vccz .LBB20_121
; %bb.114:                              ;   in Loop: Header=BB20_113 Depth=3
	s_delay_alu instid0(VALU_DEP_1)
	v_mad_u64_u32 v[13:14], null, v28, s14, v[5:6]
	s_cbranch_execnz .LBB20_116
.LBB20_115:                             ;   in Loop: Header=BB20_113 Depth=3
	v_add_nc_u32_e32 v13, v21, v27
.LBB20_116:                             ;   in Loop: Header=BB20_113 Depth=3
	s_delay_alu instid0(VALU_DEP_1) | instskip(NEXT) | instid1(VALU_DEP_1)
	v_ashrrev_i32_e32 v14, 31, v13
	v_lshlrev_b64 v[13:14], 3, v[13:14]
	s_delay_alu instid0(VALU_DEP_1) | instskip(NEXT) | instid1(VALU_DEP_2)
	v_add_co_u32 v13, vcc_lo, s8, v13
	v_add_co_ci_u32_e32 v14, vcc_lo, s9, v14, vcc_lo
	s_and_b32 vcc_lo, exec_lo, s7
	global_load_b64 v[13:14], v[13:14], off
	s_cbranch_vccz .LBB20_122
; %bb.117:                              ;   in Loop: Header=BB20_113 Depth=3
	v_mad_u64_u32 v[15:16], null, v28, s14, v[10:11]
	s_cbranch_execnz .LBB20_119
.LBB20_118:                             ;   in Loop: Header=BB20_113 Depth=3
	v_add_nc_u32_e32 v15, v25, v27
.LBB20_119:                             ;   in Loop: Header=BB20_113 Depth=3
	s_delay_alu instid0(VALU_DEP_1) | instskip(NEXT) | instid1(VALU_DEP_1)
	v_ashrrev_i32_e32 v16, 31, v15
	v_lshlrev_b64 v[15:16], 3, v[15:16]
	s_delay_alu instid0(VALU_DEP_1) | instskip(NEXT) | instid1(VALU_DEP_2)
	v_add_co_u32 v15, vcc_lo, s8, v15
	v_add_co_ci_u32_e32 v16, vcc_lo, s9, v16, vcc_lo
	s_and_b32 vcc_lo, exec_lo, s7
	global_load_b64 v[17:18], v[15:16], off
	s_cbranch_vccz .LBB20_123
; %bb.120:                              ;   in Loop: Header=BB20_113 Depth=3
	v_mad_u64_u32 v[15:16], null, v28, s14, v[10:11]
	s_cbranch_execnz .LBB20_112
	s_branch .LBB20_111
.LBB20_121:                             ;   in Loop: Header=BB20_113 Depth=3
                                        ; implicit-def: $vgpr13
	s_branch .LBB20_115
.LBB20_122:                             ;   in Loop: Header=BB20_113 Depth=3
                                        ; implicit-def: $vgpr15
	s_branch .LBB20_118
.LBB20_123:                             ;   in Loop: Header=BB20_113 Depth=3
                                        ; implicit-def: $vgpr15
	s_branch .LBB20_111
.LBB20_124:                             ;   in Loop: Header=BB20_103 Depth=2
                                        ; implicit-def: $vgpr12
	s_branch .LBB20_105
.LBB20_125:                             ;   in Loop: Header=BB20_103 Depth=2
                                        ; implicit-def: $vgpr11
	s_branch .LBB20_108
.LBB20_126:                             ;   in Loop: Header=BB20_87 Depth=1
	s_or_b32 exec_lo, exec_lo, s22
	s_delay_alu instid0(SALU_CYCLE_1)
	s_and_b32 s1, s16, exec_lo
	s_and_not1_b32 s17, s17, exec_lo
.LBB20_127:                             ;   in Loop: Header=BB20_87 Depth=1
	s_or_b32 exec_lo, exec_lo, s21
	s_delay_alu instid0(SALU_CYCLE_1) | instskip(SKIP_1) | instid1(SALU_CYCLE_1)
	s_and_not1_b32 s2, s16, exec_lo
	s_and_b32 s1, s1, exec_lo
	s_or_b32 s16, s2, s1
	s_and_saveexec_b32 s1, s17
	s_cbranch_execz .LBB20_86
; %bb.128:                              ;   in Loop: Header=BB20_87 Depth=1
	v_add_nc_u32_e32 v22, 1, v5
	s_or_b32 s16, s16, exec_lo
	s_branch .LBB20_86
.LBB20_129:
	s_or_b32 exec_lo, exec_lo, s6
	s_delay_alu instid0(SALU_CYCLE_1) | instskip(SKIP_1) | instid1(SALU_CYCLE_1)
	s_and_not1_b32 s0, s3, exec_lo
	s_and_b32 s1, s11, exec_lo
	s_or_b32 s3, s0, s1
.LBB20_130:
	s_or_b32 exec_lo, exec_lo, s5
	v_add_nc_u32_e32 v13, 1, v4
	s_mov_b32 s1, exec_lo
	s_delay_alu instid0(VALU_DEP_1)
	v_cmpx_lt_i32_e64 v13, v23
	s_cbranch_execz .LBB20_154
; %bb.131:
	v_mul_lo_u32 v14, v4, s14
	s_mul_i32 s2, s14, s14
	v_cmp_gt_i32_e64 s0, s14, v0
	v_mul_lo_u32 v6, s2, v13
	s_cmp_lg_u32 s20, 0
	s_mov_b32 s5, 0
	s_cselect_b32 s6, -1, 0
	s_add_i32 s7, s14, 1
	v_mad_u64_u32 v[4:5], null, s14, v14, s[14:15]
	s_delay_alu instid0(VALU_DEP_2)
	v_add3_u32 v15, v6, s14, v0
	s_branch .LBB20_133
.LBB20_132:                             ;   in Loop: Header=BB20_133 Depth=1
	v_add_nc_u32_e32 v13, 1, v13
	v_add_nc_u32_e32 v15, s2, v15
	s_delay_alu instid0(VALU_DEP_2) | instskip(SKIP_1) | instid1(SALU_CYCLE_1)
	v_cmp_ge_i32_e32 vcc_lo, v13, v23
	s_or_b32 s5, vcc_lo, s5
	s_and_not1_b32 exec_lo, exec_lo, s5
	s_cbranch_execz .LBB20_154
.LBB20_133:                             ; =>This Loop Header: Depth=1
                                        ;     Child Loop BB20_136 Depth 2
                                        ;       Child Loop BB20_139 Depth 3
                                        ;         Child Loop BB20_143 Depth 4
	s_and_not1_b32 vcc_lo, exec_lo, s4
	s_cbranch_vccnz .LBB20_132
; %bb.134:                              ;   in Loop: Header=BB20_133 Depth=1
	v_mul_lo_u32 v16, v13, s14
	s_delay_alu instid0(VALU_DEP_3)
	v_dual_mov_b32 v17, v15 :: v_dual_mov_b32 v18, v4
	s_mov_b32 s10, 0
	s_branch .LBB20_136
.LBB20_135:                             ;   in Loop: Header=BB20_136 Depth=2
	s_or_b32 exec_lo, exec_lo, s16
	v_add_nc_u32_e32 v18, s7, v18
	v_add_nc_u32_e32 v17, s14, v17
	s_cmp_eq_u32 s11, s14
	s_mov_b32 s10, s11
	s_cbranch_scc1 .LBB20_132
.LBB20_136:                             ;   Parent Loop BB20_133 Depth=1
                                        ; =>  This Loop Header: Depth=2
                                        ;       Child Loop BB20_139 Depth 3
                                        ;         Child Loop BB20_143 Depth 4
	s_add_i32 s11, s10, 1
	s_and_saveexec_b32 s16, s0
	s_cbranch_execz .LBB20_135
; %bb.137:                              ;   in Loop: Header=BB20_136 Depth=2
	v_dual_mov_b32 v22, v0 :: v_dual_add_nc_u32 v5, s10, v14
	v_dual_mov_b32 v21, v17 :: v_dual_add_nc_u32 v6, s10, v16
	s_cmp_lt_i32 s11, s14
	s_delay_alu instid0(VALU_DEP_2) | instskip(SKIP_1) | instid1(VALU_DEP_2)
	v_mul_lo_u32 v19, v5, s14
	s_cselect_b32 s17, -1, 0
	v_mul_lo_u32 v20, v6, s14
	s_mov_b32 s20, 0
	s_branch .LBB20_139
.LBB20_138:                             ;   in Loop: Header=BB20_139 Depth=3
	v_add_nc_u32_e32 v22, 64, v22
	v_add_nc_u32_e32 v21, 64, v21
	s_delay_alu instid0(VALU_DEP_2) | instskip(SKIP_1) | instid1(SALU_CYCLE_1)
	v_cmp_le_i32_e32 vcc_lo, s14, v22
	s_or_b32 s20, vcc_lo, s20
	s_and_not1_b32 exec_lo, exec_lo, s20
	s_cbranch_execz .LBB20_135
.LBB20_139:                             ;   Parent Loop BB20_133 Depth=1
                                        ;     Parent Loop BB20_136 Depth=2
                                        ; =>    This Loop Header: Depth=3
                                        ;         Child Loop BB20_143 Depth 4
	s_and_not1_b32 vcc_lo, exec_lo, s17
	s_cbranch_vccnz .LBB20_138
; %bb.140:                              ;   in Loop: Header=BB20_139 Depth=3
	v_add_nc_u32_e32 v5, v22, v16
	s_delay_alu instid0(VALU_DEP_2) | instskip(SKIP_2) | instid1(VALU_DEP_2)
	v_add_nc_u32_e32 v26, v22, v20
	s_mov_b32 s21, 0
	s_mov_b32 s22, s11
	v_mul_lo_u32 v24, v5, s14
	s_delay_alu instid0(VALU_DEP_1)
	v_add_nc_u32_e32 v25, s10, v24
	s_branch .LBB20_143
.LBB20_141:                             ;   in Loop: Header=BB20_143 Depth=4
	v_mov_b32_e32 v9, v27
.LBB20_142:                             ;   in Loop: Header=BB20_143 Depth=4
	s_delay_alu instid0(VALU_DEP_1)
	v_ashrrev_i32_e32 v10, 31, v9
	s_waitcnt vmcnt(0)
	v_fma_f32 v11, -v5, v7, v11
	v_fma_f32 v7, -v6, v7, v12
	s_add_i32 s22, s22, 1
	s_add_i32 s21, s21, s14
	v_lshlrev_b64 v[9:10], 3, v[9:10]
	v_fmac_f32_e32 v11, v6, v8
	v_fma_f32 v12, -v5, v8, v7
	s_cmp_ge_i32 s22, s14
	s_delay_alu instid0(VALU_DEP_3) | instskip(NEXT) | instid1(VALU_DEP_4)
	v_add_co_u32 v5, vcc_lo, s8, v9
	v_add_co_ci_u32_e32 v6, vcc_lo, s9, v10, vcc_lo
	global_store_b64 v[5:6], v[11:12], off
	s_cbranch_scc1 .LBB20_138
.LBB20_143:                             ;   Parent Loop BB20_133 Depth=1
                                        ;     Parent Loop BB20_136 Depth=2
                                        ;       Parent Loop BB20_139 Depth=3
                                        ; =>      This Inner Loop Header: Depth=4
	s_and_b32 vcc_lo, exec_lo, s6
	s_cbranch_vccz .LBB20_151
; %bb.144:                              ;   in Loop: Header=BB20_143 Depth=4
	v_add_nc_u32_e32 v5, s22, v19
	v_mov_b32_e32 v7, v25
	s_cbranch_execnz .LBB20_146
.LBB20_145:                             ;   in Loop: Header=BB20_143 Depth=4
	v_add_nc_u32_e32 v5, s21, v18
	v_mov_b32_e32 v7, v26
.LBB20_146:                             ;   in Loop: Header=BB20_143 Depth=4
	s_delay_alu instid0(VALU_DEP_2) | instskip(NEXT) | instid1(VALU_DEP_2)
	v_ashrrev_i32_e32 v6, 31, v5
	v_ashrrev_i32_e32 v8, 31, v7
	v_add_nc_u32_e32 v9, s22, v24
	s_delay_alu instid0(VALU_DEP_3) | instskip(NEXT) | instid1(VALU_DEP_3)
	v_lshlrev_b64 v[5:6], 3, v[5:6]
	v_lshlrev_b64 v[7:8], 3, v[7:8]
	s_delay_alu instid0(VALU_DEP_2) | instskip(NEXT) | instid1(VALU_DEP_3)
	v_add_co_u32 v5, vcc_lo, s8, v5
	v_add_co_ci_u32_e32 v6, vcc_lo, s9, v6, vcc_lo
	s_delay_alu instid0(VALU_DEP_3) | instskip(NEXT) | instid1(VALU_DEP_4)
	v_add_co_u32 v7, vcc_lo, s8, v7
	v_add_co_ci_u32_e32 v8, vcc_lo, s9, v8, vcc_lo
	s_and_b32 vcc_lo, exec_lo, s6
	s_clause 0x1
	global_load_b64 v[5:6], v[5:6], off
	global_load_b64 v[7:8], v[7:8], off
	s_cbranch_vccz .LBB20_152
; %bb.147:                              ;   in Loop: Header=BB20_143 Depth=4
	v_add_nc_u32_e32 v10, s22, v24
	v_add_nc_u32_e32 v27, s21, v21
	s_cbranch_execnz .LBB20_149
.LBB20_148:                             ;   in Loop: Header=BB20_143 Depth=4
	v_add_nc_u32_e32 v10, s21, v21
.LBB20_149:                             ;   in Loop: Header=BB20_143 Depth=4
	s_delay_alu instid0(VALU_DEP_1) | instskip(NEXT) | instid1(VALU_DEP_1)
	v_ashrrev_i32_e32 v11, 31, v10
	v_lshlrev_b64 v[10:11], 3, v[10:11]
	s_delay_alu instid0(VALU_DEP_1) | instskip(NEXT) | instid1(VALU_DEP_2)
	v_add_co_u32 v10, vcc_lo, s8, v10
	v_add_co_ci_u32_e32 v11, vcc_lo, s9, v11, vcc_lo
	s_and_b32 vcc_lo, exec_lo, s6
	global_load_b64 v[11:12], v[10:11], off
	s_cbranch_vccz .LBB20_153
; %bb.150:                              ;   in Loop: Header=BB20_143 Depth=4
	s_cbranch_execnz .LBB20_142
	s_branch .LBB20_141
.LBB20_151:                             ;   in Loop: Header=BB20_143 Depth=4
                                        ; implicit-def: $vgpr5
	s_delay_alu instid0(VALU_DEP_1)
	v_mov_b32_e32 v7, v25
	s_branch .LBB20_145
.LBB20_152:                             ;   in Loop: Header=BB20_143 Depth=4
                                        ; implicit-def: $vgpr10
	v_add_nc_u32_e32 v27, s21, v21
	s_branch .LBB20_148
.LBB20_153:                             ;   in Loop: Header=BB20_143 Depth=4
                                        ; implicit-def: $vgpr9
	s_branch .LBB20_141
.LBB20_154:
	s_or_b32 exec_lo, exec_lo, s1
	s_delay_alu instid0(SALU_CYCLE_1)
	s_or_not1_b32 s2, s3, exec_lo
.LBB20_155:
	s_or_b32 exec_lo, exec_lo, s15
	v_cmp_eq_u32_e32 vcc_lo, 0, v0
	s_and_b32 exec_lo, exec_lo, vcc_lo
	s_cbranch_execz .LBB20_161
; %bb.156:
	v_add_co_u32 v2, vcc_lo, s12, v2
	v_add_co_ci_u32_e32 v3, vcc_lo, s13, v3, vcc_lo
	v_mov_b32_e32 v0, 1
	s_waitcnt_vscnt null, 0x0
	global_store_b32 v[2:3], v0, off
	s_and_b32 exec_lo, exec_lo, s2
	s_cbranch_execz .LBB20_161
; %bb.157:
	v_add_nc_u32_e32 v0, s24, v1
	s_mov_b32 s1, exec_lo
	s_brev_b32 s0, -2
.LBB20_158:                             ; =>This Inner Loop Header: Depth=1
	s_ctz_i32_b32 s2, s1
	s_delay_alu instid0(VALU_DEP_1) | instid1(SALU_CYCLE_1)
	v_readlane_b32 s3, v0, s2
	s_lshl_b32 s2, 1, s2
	s_delay_alu instid0(SALU_CYCLE_1) | instskip(NEXT) | instid1(VALU_DEP_1)
	s_and_not1_b32 s1, s1, s2
	s_min_i32 s0, s0, s3
	s_cmp_lg_u32 s1, 0
	s_cbranch_scc1 .LBB20_158
; %bb.159:
	v_mbcnt_lo_u32_b32 v0, exec_lo, 0
	s_mov_b32 s1, exec_lo
	s_delay_alu instid0(VALU_DEP_1)
	v_cmpx_eq_u32_e32 0, v0
	s_xor_b32 s1, exec_lo, s1
	s_cbranch_execz .LBB20_161
; %bb.160:
	v_dual_mov_b32 v0, 0 :: v_dual_mov_b32 v1, s0
	global_atomic_min_i32 v0, v1, s[18:19]
.LBB20_161:
	s_nop 0
	s_sendmsg sendmsg(MSG_DEALLOC_VGPRS)
	s_endpgm
	.section	.rodata,"a",@progbits
	.p2align	6, 0x0
	.amdhsa_kernel _ZN9rocsparseL15bsrilu0_generalILj128ELj64ELb0E21rocsparse_complex_numIfEEEv20rocsparse_direction_iPKiS5_PT2_S5_iPiS5_S8_21rocsparse_index_base_imNS_24const_host_device_scalarIfEENSA_IdEENSA_IS6_EEb
		.amdhsa_group_segment_fixed_size 0
		.amdhsa_private_segment_fixed_size 0
		.amdhsa_kernarg_size 116
		.amdhsa_user_sgpr_count 15
		.amdhsa_user_sgpr_dispatch_ptr 0
		.amdhsa_user_sgpr_queue_ptr 0
		.amdhsa_user_sgpr_kernarg_segment_ptr 1
		.amdhsa_user_sgpr_dispatch_id 0
		.amdhsa_user_sgpr_private_segment_size 0
		.amdhsa_wavefront_size32 1
		.amdhsa_uses_dynamic_stack 0
		.amdhsa_enable_private_segment 0
		.amdhsa_system_sgpr_workgroup_id_x 1
		.amdhsa_system_sgpr_workgroup_id_y 0
		.amdhsa_system_sgpr_workgroup_id_z 0
		.amdhsa_system_sgpr_workgroup_info 0
		.amdhsa_system_vgpr_workitem_id 0
		.amdhsa_next_free_vgpr 39
		.amdhsa_next_free_sgpr 45
		.amdhsa_reserve_vcc 1
		.amdhsa_float_round_mode_32 0
		.amdhsa_float_round_mode_16_64 0
		.amdhsa_float_denorm_mode_32 3
		.amdhsa_float_denorm_mode_16_64 3
		.amdhsa_dx10_clamp 1
		.amdhsa_ieee_mode 1
		.amdhsa_fp16_overflow 0
		.amdhsa_workgroup_processor_mode 1
		.amdhsa_memory_ordered 1
		.amdhsa_forward_progress 0
		.amdhsa_shared_vgpr_count 0
		.amdhsa_exception_fp_ieee_invalid_op 0
		.amdhsa_exception_fp_denorm_src 0
		.amdhsa_exception_fp_ieee_div_zero 0
		.amdhsa_exception_fp_ieee_overflow 0
		.amdhsa_exception_fp_ieee_underflow 0
		.amdhsa_exception_fp_ieee_inexact 0
		.amdhsa_exception_int_div_zero 0
	.end_amdhsa_kernel
	.section	.text._ZN9rocsparseL15bsrilu0_generalILj128ELj64ELb0E21rocsparse_complex_numIfEEEv20rocsparse_direction_iPKiS5_PT2_S5_iPiS5_S8_21rocsparse_index_base_imNS_24const_host_device_scalarIfEENSA_IdEENSA_IS6_EEb,"axG",@progbits,_ZN9rocsparseL15bsrilu0_generalILj128ELj64ELb0E21rocsparse_complex_numIfEEEv20rocsparse_direction_iPKiS5_PT2_S5_iPiS5_S8_21rocsparse_index_base_imNS_24const_host_device_scalarIfEENSA_IdEENSA_IS6_EEb,comdat
.Lfunc_end20:
	.size	_ZN9rocsparseL15bsrilu0_generalILj128ELj64ELb0E21rocsparse_complex_numIfEEEv20rocsparse_direction_iPKiS5_PT2_S5_iPiS5_S8_21rocsparse_index_base_imNS_24const_host_device_scalarIfEENSA_IdEENSA_IS6_EEb, .Lfunc_end20-_ZN9rocsparseL15bsrilu0_generalILj128ELj64ELb0E21rocsparse_complex_numIfEEEv20rocsparse_direction_iPKiS5_PT2_S5_iPiS5_S8_21rocsparse_index_base_imNS_24const_host_device_scalarIfEENSA_IdEENSA_IS6_EEb
                                        ; -- End function
	.section	.AMDGPU.csdata,"",@progbits
; Kernel info:
; codeLenInByte = 5152
; NumSgprs: 47
; NumVgprs: 39
; ScratchSize: 0
; MemoryBound: 0
; FloatMode: 240
; IeeeMode: 1
; LDSByteSize: 0 bytes/workgroup (compile time only)
; SGPRBlocks: 5
; VGPRBlocks: 4
; NumSGPRsForWavesPerEU: 47
; NumVGPRsForWavesPerEU: 39
; Occupancy: 16
; WaveLimiterHint : 1
; COMPUTE_PGM_RSRC2:SCRATCH_EN: 0
; COMPUTE_PGM_RSRC2:USER_SGPR: 15
; COMPUTE_PGM_RSRC2:TRAP_HANDLER: 0
; COMPUTE_PGM_RSRC2:TGID_X_EN: 1
; COMPUTE_PGM_RSRC2:TGID_Y_EN: 0
; COMPUTE_PGM_RSRC2:TGID_Z_EN: 0
; COMPUTE_PGM_RSRC2:TIDIG_COMP_CNT: 0
	.section	.text._ZN9rocsparseL15bsrilu0_generalILj128ELj64ELb1E21rocsparse_complex_numIdEEEv20rocsparse_direction_iPKiS5_PT2_S5_iPiS5_S8_21rocsparse_index_base_imNS_24const_host_device_scalarIfEENSA_IdEENSA_IS6_EEb,"axG",@progbits,_ZN9rocsparseL15bsrilu0_generalILj128ELj64ELb1E21rocsparse_complex_numIdEEEv20rocsparse_direction_iPKiS5_PT2_S5_iPiS5_S8_21rocsparse_index_base_imNS_24const_host_device_scalarIfEENSA_IdEENSA_IS6_EEb,comdat
	.globl	_ZN9rocsparseL15bsrilu0_generalILj128ELj64ELb1E21rocsparse_complex_numIdEEEv20rocsparse_direction_iPKiS5_PT2_S5_iPiS5_S8_21rocsparse_index_base_imNS_24const_host_device_scalarIfEENSA_IdEENSA_IS6_EEb ; -- Begin function _ZN9rocsparseL15bsrilu0_generalILj128ELj64ELb1E21rocsparse_complex_numIdEEEv20rocsparse_direction_iPKiS5_PT2_S5_iPiS5_S8_21rocsparse_index_base_imNS_24const_host_device_scalarIfEENSA_IdEENSA_IS6_EEb
	.p2align	8
	.type	_ZN9rocsparseL15bsrilu0_generalILj128ELj64ELb1E21rocsparse_complex_numIdEEEv20rocsparse_direction_iPKiS5_PT2_S5_iPiS5_S8_21rocsparse_index_base_imNS_24const_host_device_scalarIfEENSA_IdEENSA_IS6_EEb,@function
_ZN9rocsparseL15bsrilu0_generalILj128ELj64ELb1E21rocsparse_complex_numIdEEEv20rocsparse_direction_iPKiS5_PT2_S5_iPiS5_S8_21rocsparse_index_base_imNS_24const_host_device_scalarIfEENSA_IdEENSA_IS6_EEb: ; @_ZN9rocsparseL15bsrilu0_generalILj128ELj64ELb1E21rocsparse_complex_numIdEEEv20rocsparse_direction_iPKiS5_PT2_S5_iPiS5_S8_21rocsparse_index_base_imNS_24const_host_device_scalarIfEENSA_IdEENSA_IS6_EEb
; %bb.0:
	s_load_b32 s8, s[2:3], 0x78
	s_load_b64 s[6:7], s[0:1], 0x4
	s_clause 0x1
	s_load_b64 s[24:25], s[2:3], 0x48
	s_load_b256 s[16:23], s[2:3], 0x50
	v_bfe_u32 v1, v0, 10, 10
	s_load_b64 s[4:5], s[2:3], 0x70
	v_and_b32_e32 v4, 0x3ff, v0
	v_bfe_u32 v2, v0, 20, 10
	s_waitcnt lgkmcnt(0)
	s_bitcmp1_b32 s8, 0
	v_mul_u32_u24_e32 v0, s7, v1
	s_cselect_b32 s0, -1, 0
	s_lshr_b32 s1, s6, 16
	s_cmp_lg_u32 s25, 0
	s_mul_i32 s6, s1, s7
	s_cselect_b32 s1, -1, 0
	v_mad_u32_u24 v3, s6, v4, v0
	s_cmp_eq_u32 s25, 0
	v_dual_mov_b32 v0, s22 :: v_dual_mov_b32 v1, s23
	s_cselect_b32 s9, -1, 0
	s_delay_alu instid0(VALU_DEP_2)
	v_add_lshl_u32 v5, v3, v2, 3
	s_and_b32 s6, s9, exec_lo
	s_cselect_b32 s6, 0, s20
	s_cselect_b32 s7, 0, s21
	s_or_b32 s10, s9, s0
	ds_store_b64 v5, v[0:1]
	s_xor_b32 s8, s10, -1
	s_and_b32 vcc_lo, exec_lo, s10
	s_cbranch_vccnz .LBB21_2
; %bb.1:
	s_load_b32 s6, s[18:19], 0x0
	s_waitcnt lgkmcnt(0)
	v_mov_b32_e32 v35, s6
	s_mov_b64 s[6:7], s[20:21]
	s_delay_alu instid0(SALU_CYCLE_1)
	v_dual_mov_b32 v23, s7 :: v_dual_mov_b32 v22, s6
	s_and_not1_b32 vcc_lo, exec_lo, s8
	s_cbranch_vccz .LBB21_3
	s_branch .LBB21_4
.LBB21_2:
	v_cndmask_b32_e64 v35, s18, 0, s9
	v_dual_mov_b32 v23, s7 :: v_dual_mov_b32 v22, s6
	s_and_not1_b32 vcc_lo, exec_lo, s8
	s_cbranch_vccnz .LBB21_4
.LBB21_3:
	v_dual_mov_b32 v0, s20 :: v_dual_mov_b32 v1, s21
	flat_load_b64 v[22:23], v[0:1]
.LBB21_4:
	v_mov_b32_e32 v0, 0
	v_mov_b32_e32 v1, 0
	v_cndmask_b32_e64 v34, 0, 1, s1
	s_and_not1_b32 vcc_lo, exec_lo, s1
	s_delay_alu instid0(VALU_DEP_2)
	v_dual_mov_b32 v3, v1 :: v_dual_mov_b32 v2, v0
	s_cbranch_vccnz .LBB21_7
; %bb.5:
	s_mov_b64 s[6:7], src_shared_base
	s_xor_b32 s1, s0, -1
	s_and_b32 s6, s0, exec_lo
	s_cselect_b32 s6, s7, s23
	v_cndmask_b32_e64 v0, s22, v5, s0
	v_dual_mov_b32 v1, s6 :: v_dual_mov_b32 v2, s4
	v_mov_b32_e32 v3, s5
	s_and_not1_b32 vcc_lo, exec_lo, s1
	flat_load_b64 v[0:1], v[0:1]
	s_cbranch_vccnz .LBB21_7
; %bb.6:
	v_dual_mov_b32 v2, s22 :: v_dual_mov_b32 v3, s23
	flat_load_b64 v[2:3], v[2:3] offset:8
.LBB21_7:
	s_load_b64 s[20:21], s[2:3], 0x0
	v_lshrrev_b32_e32 v5, 6, v4
	s_lshl_b32 s0, s15, 1
	s_waitcnt vmcnt(0) lgkmcnt(0)
	scratch_store_b128 off, v[0:3], off
	v_and_or_b32 v5, 0x3fffffe, s0, v5
	s_mov_b32 s0, exec_lo
	s_delay_alu instid0(VALU_DEP_1)
	v_cmpx_gt_i32_e64 s21, v5
	s_cbranch_execz .LBB21_160
; %bb.8:
	s_clause 0x1
	s_load_b128 s[12:15], s[2:3], 0x30
	s_load_b64 s[18:19], s[2:3], 0x40
	v_lshlrev_b32_e32 v0, 2, v5
	s_load_b256 s[4:11], s[2:3], 0x8
	v_and_b32_e32 v19, 63, v4
	s_mov_b32 s0, -1
	s_waitcnt lgkmcnt(0)
	global_load_b32 v16, v0, s[14:15]
	s_mov_b32 s15, exec_lo
	s_waitcnt vmcnt(0)
	v_ashrrev_i32_e32 v17, 31, v16
	s_delay_alu instid0(VALU_DEP_1) | instskip(NEXT) | instid1(VALU_DEP_1)
	v_lshlrev_b64 v[17:18], 2, v[16:17]
	v_add_co_u32 v0, vcc_lo, s10, v17
	s_delay_alu instid0(VALU_DEP_2)
	v_add_co_ci_u32_e32 v1, vcc_lo, s11, v18, vcc_lo
	global_load_b32 v20, v[0:1], off
	s_waitcnt vmcnt(0)
	v_cmpx_ne_u32_e32 -1, v20
	s_cbranch_execz .LBB21_154
; %bb.9:
	v_add_co_u32 v0, vcc_lo, s4, v17
	v_add_co_ci_u32_e32 v1, vcc_lo, s5, v18, vcc_lo
	s_load_b32 s14, s[2:3], 0x28
	s_mov_b32 s3, 0
	s_mov_b32 s22, exec_lo
	global_load_b64 v[0:1], v[0:1], off
	s_waitcnt vmcnt(0)
	v_subrev_nc_u32_e32 v24, s24, v0
	v_subrev_nc_u32_e32 v33, s24, v1
	s_delay_alu instid0(VALU_DEP_2)
	v_cmpx_lt_i32_e64 v24, v20
	s_cbranch_execz .LBB21_83
; %bb.10:
	v_add_nc_u32_e32 v26, v24, v19
	s_waitcnt lgkmcnt(0)
	v_mad_u64_u32 v[2:3], null, s14, v24, v[19:20]
	s_cmp_gt_i32 s14, 0
	v_cmp_gt_i32_e64 s0, s14, v19
	v_ashrrev_i32_e32 v27, 31, v26
	s_cselect_b32 s23, -1, 0
	s_cmp_lg_u32 s20, 0
	v_cmp_le_i32_e64 s1, s14, v19
	s_delay_alu instid0(VALU_DEP_4)
	v_mul_lo_u32 v36, s14, v2
	v_lshlrev_b64 v[0:1], 2, v[26:27]
	s_cselect_b32 s26, -1, 0
	s_add_i32 s21, s21, 1
	v_cmp_lt_i32_e64 s2, v26, v33
	s_add_u32 s27, s4, 4
	s_addc_u32 s28, s5, 0
	v_add_co_u32 v27, vcc_lo, s6, v0
	v_add_co_ci_u32_e32 v28, vcc_lo, s7, v1, vcc_lo
	s_add_u32 s29, s6, 0x100
	s_mov_b32 s25, 0
	s_addc_u32 s30, s7, 0
	s_mul_i32 s31, s14, s14
	s_lshl_b32 s33, s14, 6
	s_mov_b32 s34, 0
                                        ; implicit-def: $sgpr35
                                        ; implicit-def: $sgpr36
	s_branch .LBB21_13
.LBB21_11:                              ;   in Loop: Header=BB21_13 Depth=1
	s_or_b32 exec_lo, exec_lo, s4
	s_delay_alu instid0(SALU_CYCLE_1) | instskip(SKIP_1) | instid1(SALU_CYCLE_1)
	s_and_not1_b32 s4, s36, exec_lo
	s_and_b32 s5, s25, exec_lo
	s_or_b32 s36, s4, s5
.LBB21_12:                              ;   in Loop: Header=BB21_13 Depth=1
	s_or_b32 exec_lo, exec_lo, s37
	v_add_nc_u32_e32 v24, 1, v24
	s_xor_b32 s3, s3, -1
	v_add_nc_u32_e32 v36, s31, v36
	s_mov_b32 s25, s36
	s_delay_alu instid0(VALU_DEP_2) | instskip(SKIP_1) | instid1(SALU_CYCLE_1)
	v_cmp_ge_i32_e32 vcc_lo, v24, v20
	s_or_b32 s3, s3, vcc_lo
	s_and_b32 s3, exec_lo, s3
	s_delay_alu instid0(SALU_CYCLE_1) | instskip(SKIP_2) | instid1(SALU_CYCLE_1)
	s_or_b32 s34, s3, s34
	s_and_not1_b32 s3, s35, exec_lo
	s_and_b32 s4, s36, exec_lo
	s_or_b32 s35, s3, s4
	s_and_not1_b32 exec_lo, exec_lo, s34
	s_cbranch_execz .LBB21_82
.LBB21_13:                              ; =>This Loop Header: Depth=1
                                        ;     Child Loop BB21_17 Depth 2
                                        ;       Child Loop BB21_18 Depth 3
                                        ;     Child Loop BB21_23 Depth 2
                                        ;       Child Loop BB21_28 Depth 3
                                        ;         Child Loop BB21_38 Depth 4
                                        ;     Child Loop BB21_56 Depth 2
                                        ;       Child Loop BB21_61 Depth 3
                                        ;       Child Loop BB21_68 Depth 3
                                        ;         Child Loop BB21_71 Depth 4
                                        ;           Child Loop BB21_73 Depth 5
	v_ashrrev_i32_e32 v25, 31, v24
	s_or_b32 s36, s36, exec_lo
	s_waitcnt lgkmcnt(0)
	s_delay_alu instid0(VALU_DEP_1) | instskip(NEXT) | instid1(VALU_DEP_1)
	v_lshlrev_b64 v[0:1], 2, v[24:25]
	v_add_co_u32 v0, vcc_lo, s6, v0
	s_delay_alu instid0(VALU_DEP_2) | instskip(SKIP_3) | instid1(VALU_DEP_1)
	v_add_co_ci_u32_e32 v1, vcc_lo, s7, v1, vcc_lo
	global_load_b32 v0, v[0:1], off
	s_waitcnt vmcnt(0)
	v_subrev_nc_u32_e32 v0, s24, v0
	v_ashrrev_i32_e32 v1, 31, v0
	s_delay_alu instid0(VALU_DEP_1) | instskip(NEXT) | instid1(VALU_DEP_1)
	v_lshlrev_b64 v[0:1], 2, v[0:1]
	v_add_co_u32 v2, vcc_lo, s10, v0
	s_delay_alu instid0(VALU_DEP_2) | instskip(SKIP_3) | instid1(VALU_DEP_1)
	v_add_co_ci_u32_e32 v3, vcc_lo, s11, v1, vcc_lo
	global_load_b32 v38, v[2:3], off
	s_waitcnt vmcnt(0)
	v_cmp_ne_u32_e64 s3, -1, v38
	s_and_saveexec_b32 s37, s3
	s_cbranch_execz .LBB21_12
; %bb.14:                               ;   in Loop: Header=BB21_13 Depth=1
	v_add_co_u32 v2, vcc_lo, s27, v0
	v_add_co_ci_u32_e32 v3, vcc_lo, s28, v1, vcc_lo
	v_add_co_u32 v0, vcc_lo, s12, v0
	v_add_co_ci_u32_e32 v1, vcc_lo, s13, v1, vcc_lo
	s_mov_b32 s4, exec_lo
	global_load_b32 v39, v[2:3], off
	global_load_b32 v2, v[0:1], off glc
	s_waitcnt vmcnt(0)
	v_cmpx_eq_u32_e32 0, v2
	s_cbranch_execz .LBB21_19
; %bb.15:                               ;   in Loop: Header=BB21_13 Depth=1
	s_mov_b32 s5, 0
	s_mov_b32 s38, 0
	s_branch .LBB21_17
	.p2align	6
.LBB21_16:                              ;   in Loop: Header=BB21_17 Depth=2
	global_load_b32 v2, v[0:1], off glc
	s_cmpk_lt_u32 s38, 0xf43
	s_cselect_b32 s39, -1, 0
	s_delay_alu instid0(SALU_CYCLE_1) | instskip(SKIP_4) | instid1(SALU_CYCLE_1)
	s_cmp_lg_u32 s39, 0
	s_addc_u32 s38, s38, 0
	s_waitcnt vmcnt(0)
	v_cmp_ne_u32_e32 vcc_lo, 0, v2
	s_or_b32 s5, vcc_lo, s5
	s_and_not1_b32 exec_lo, exec_lo, s5
	s_cbranch_execz .LBB21_19
.LBB21_17:                              ;   Parent Loop BB21_13 Depth=1
                                        ; =>  This Loop Header: Depth=2
                                        ;       Child Loop BB21_18 Depth 3
	s_cmp_eq_u32 s38, 0
	s_mov_b32 s39, s38
	s_cbranch_scc1 .LBB21_16
.LBB21_18:                              ;   Parent Loop BB21_13 Depth=1
                                        ;     Parent Loop BB21_17 Depth=2
                                        ; =>    This Inner Loop Header: Depth=3
	s_add_i32 s39, s39, -1
	s_sleep 1
	s_cmp_eq_u32 s39, 0
	s_cbranch_scc0 .LBB21_18
	s_branch .LBB21_16
.LBB21_19:                              ;   in Loop: Header=BB21_13 Depth=1
	s_or_b32 exec_lo, exec_lo, s4
	v_mul_lo_u32 v37, v24, s14
	s_and_not1_b32 vcc_lo, exec_lo, s23
	s_waitcnt_vscnt null, 0x0
	buffer_gl1_inv
	buffer_gl0_inv
	s_cbranch_vccnz .LBB21_52
; %bb.20:                               ;   in Loop: Header=BB21_13 Depth=1
	v_mul_lo_u32 v40, v38, s14
	v_mov_b32_e32 v21, 0
	s_mov_b32 s38, 0
	s_branch .LBB21_23
.LBB21_21:                              ;   in Loop: Header=BB21_23 Depth=2
	s_or_b32 exec_lo, exec_lo, s40
	v_mov_b32_e32 v21, v41
.LBB21_22:                              ;   in Loop: Header=BB21_23 Depth=2
	s_or_b32 exec_lo, exec_lo, s39
	s_delay_alu instid0(VALU_DEP_1) | instskip(SKIP_1) | instid1(SALU_CYCLE_1)
	v_cmp_eq_u32_e32 vcc_lo, s14, v21
	s_or_b32 s38, vcc_lo, s38
	s_and_not1_b32 exec_lo, exec_lo, s38
	s_cbranch_execz .LBB21_51
.LBB21_23:                              ;   Parent Loop BB21_13 Depth=1
                                        ; =>  This Loop Header: Depth=2
                                        ;       Child Loop BB21_28 Depth 3
                                        ;         Child Loop BB21_38 Depth 4
	s_delay_alu instid0(VALU_DEP_1) | instskip(SKIP_1) | instid1(SALU_CYCLE_1)
	v_add_nc_u32_e32 v41, 1, v21
	s_and_saveexec_b32 s4, s1
	s_xor_b32 s4, exec_lo, s4
; %bb.24:                               ;   in Loop: Header=BB21_23 Depth=2
	v_add_nc_u32_e32 v21, 1, v21
                                        ; implicit-def: $vgpr41
; %bb.25:                               ;   in Loop: Header=BB21_23 Depth=2
	s_and_not1_saveexec_b32 s39, s4
	s_cbranch_execz .LBB21_22
; %bb.26:                               ;   in Loop: Header=BB21_23 Depth=2
	s_delay_alu instid0(VALU_DEP_1) | instskip(SKIP_3) | instid1(VALU_DEP_3)
	v_dual_mov_b32 v25, v19 :: v_dual_add_nc_u32 v0, v21, v40
	v_cmp_gt_i32_e64 s4, s14, v41
	v_mov_b32_e32 v44, v36
	s_mov_b32 s40, 0
	v_mul_lo_u32 v42, v0, s14
	s_delay_alu instid0(VALU_DEP_1) | instskip(NEXT) | instid1(VALU_DEP_1)
	v_add_nc_u32_e32 v0, v42, v21
	v_ashrrev_i32_e32 v1, 31, v0
	s_delay_alu instid0(VALU_DEP_1) | instskip(NEXT) | instid1(VALU_DEP_1)
	v_lshlrev_b64 v[0:1], 4, v[0:1]
	v_add_co_u32 v0, vcc_lo, s8, v0
	s_delay_alu instid0(VALU_DEP_2) | instskip(SKIP_3) | instid1(VALU_DEP_1)
	v_add_co_ci_u32_e32 v1, vcc_lo, s9, v1, vcc_lo
	global_load_b128 v[0:3], v[0:1], off
	s_waitcnt vmcnt(0)
	v_mul_f64 v[4:5], v[2:3], v[2:3]
	v_fma_f64 v[4:5], v[0:1], v[0:1], v[4:5]
	s_delay_alu instid0(VALU_DEP_1) | instskip(NEXT) | instid1(VALU_DEP_1)
	v_div_scale_f64 v[6:7], null, v[4:5], v[4:5], 1.0
	v_rcp_f64_e32 v[8:9], v[6:7]
	s_waitcnt_depctr 0xfff
	v_fma_f64 v[10:11], -v[6:7], v[8:9], 1.0
	s_delay_alu instid0(VALU_DEP_1) | instskip(NEXT) | instid1(VALU_DEP_1)
	v_fma_f64 v[8:9], v[8:9], v[10:11], v[8:9]
	v_fma_f64 v[10:11], -v[6:7], v[8:9], 1.0
	s_delay_alu instid0(VALU_DEP_1) | instskip(SKIP_1) | instid1(VALU_DEP_1)
	v_fma_f64 v[8:9], v[8:9], v[10:11], v[8:9]
	v_div_scale_f64 v[10:11], vcc_lo, 1.0, v[4:5], 1.0
	v_mul_f64 v[12:13], v[10:11], v[8:9]
	s_delay_alu instid0(VALU_DEP_1) | instskip(NEXT) | instid1(VALU_DEP_1)
	v_fma_f64 v[6:7], -v[6:7], v[12:13], v[10:11]
	v_div_fmas_f64 v[6:7], v[6:7], v[8:9], v[12:13]
	s_delay_alu instid0(VALU_DEP_1) | instskip(SKIP_1) | instid1(VALU_DEP_1)
	v_div_fixup_f64 v[29:30], v[6:7], v[4:5], 1.0
	v_add_nc_u32_e32 v4, v21, v37
	v_mul_lo_u32 v43, v4, s14
	s_branch .LBB21_28
.LBB21_27:                              ;   in Loop: Header=BB21_28 Depth=3
	s_or_b32 exec_lo, exec_lo, s41
	v_add_nc_u32_e32 v25, 64, v25
	v_add_nc_u32_e32 v44, s33, v44
	s_delay_alu instid0(VALU_DEP_2) | instskip(SKIP_1) | instid1(SALU_CYCLE_1)
	v_cmp_le_i32_e32 vcc_lo, s14, v25
	s_or_b32 s40, vcc_lo, s40
	s_and_not1_b32 exec_lo, exec_lo, s40
	s_cbranch_execz .LBB21_21
.LBB21_28:                              ;   Parent Loop BB21_13 Depth=1
                                        ;     Parent Loop BB21_23 Depth=2
                                        ; =>    This Loop Header: Depth=3
                                        ;         Child Loop BB21_38 Depth 4
	s_delay_alu instid0(VALU_DEP_1)
	v_add_nc_u32_e32 v8, v25, v43
	s_and_b32 vcc_lo, exec_lo, s26
	s_cbranch_vccz .LBB21_49
; %bb.29:                               ;   in Loop: Header=BB21_28 Depth=3
	v_add_nc_u32_e32 v4, v25, v43
	v_add_nc_u32_e32 v10, v25, v37
	s_cbranch_execnz .LBB21_31
.LBB21_30:                              ;   in Loop: Header=BB21_28 Depth=3
	s_delay_alu instid0(VALU_DEP_1)
	v_mad_u64_u32 v[4:5], null, v10, s14, v[21:22]
.LBB21_31:                              ;   in Loop: Header=BB21_28 Depth=3
	s_delay_alu instid0(VALU_DEP_1) | instskip(NEXT) | instid1(VALU_DEP_1)
	v_ashrrev_i32_e32 v5, 31, v4
	v_lshlrev_b64 v[4:5], 4, v[4:5]
	s_delay_alu instid0(VALU_DEP_1) | instskip(NEXT) | instid1(VALU_DEP_2)
	v_add_co_u32 v4, vcc_lo, s8, v4
	v_add_co_ci_u32_e32 v5, vcc_lo, s9, v5, vcc_lo
	s_and_b32 vcc_lo, exec_lo, s26
	global_load_b128 v[4:7], v[4:5], off
	s_cbranch_vccz .LBB21_50
; %bb.32:                               ;   in Loop: Header=BB21_28 Depth=3
	s_cbranch_execnz .LBB21_34
.LBB21_33:                              ;   in Loop: Header=BB21_28 Depth=3
	v_mad_u64_u32 v[8:9], null, v10, s14, v[21:22]
.LBB21_34:                              ;   in Loop: Header=BB21_28 Depth=3
	s_waitcnt vmcnt(0)
	v_mul_f64 v[9:10], v[2:3], v[6:7]
	v_mul_f64 v[11:12], v[2:3], -v[4:5]
	s_delay_alu instid0(VALU_DEP_2) | instskip(NEXT) | instid1(VALU_DEP_2)
	v_fma_f64 v[4:5], v[4:5], v[0:1], v[9:10]
	v_fma_f64 v[6:7], v[6:7], v[0:1], v[11:12]
	v_ashrrev_i32_e32 v9, 31, v8
	s_delay_alu instid0(VALU_DEP_1) | instskip(NEXT) | instid1(VALU_DEP_1)
	v_lshlrev_b64 v[8:9], 4, v[8:9]
	v_add_co_u32 v8, vcc_lo, s8, v8
	s_delay_alu instid0(VALU_DEP_2)
	v_add_co_ci_u32_e32 v9, vcc_lo, s9, v9, vcc_lo
	v_mul_f64 v[4:5], v[29:30], v[4:5]
	v_mul_f64 v[6:7], v[29:30], v[6:7]
	global_store_b128 v[8:9], v[4:7], off
	s_and_saveexec_b32 s41, s4
	s_cbranch_execz .LBB21_27
; %bb.35:                               ;   in Loop: Header=BB21_28 Depth=3
	v_mov_b32_e32 v45, v41
	s_mov_b32 s42, 0
	s_branch .LBB21_38
.LBB21_36:                              ;   in Loop: Header=BB21_38 Depth=4
	v_mov_b32_e32 v31, v47
.LBB21_37:                              ;   in Loop: Header=BB21_38 Depth=4
	s_waitcnt vmcnt(0)
	v_fma_f64 v[12:13], -v[4:5], v[8:9], v[12:13]
	v_fma_f64 v[14:15], -v[6:7], v[8:9], v[14:15]
	s_delay_alu instid0(VALU_DEP_3) | instskip(SKIP_1) | instid1(VALU_DEP_1)
	v_ashrrev_i32_e32 v32, 31, v31
	v_add_nc_u32_e32 v45, 1, v45
	v_cmp_le_i32_e32 vcc_lo, s14, v45
	s_or_b32 s42, vcc_lo, s42
	v_fma_f64 v[8:9], v[6:7], v[10:11], v[12:13]
	v_fma_f64 v[10:11], -v[4:5], v[10:11], v[14:15]
	v_lshlrev_b64 v[12:13], 4, v[31:32]
	s_delay_alu instid0(VALU_DEP_1) | instskip(NEXT) | instid1(VALU_DEP_1)
	v_add_co_u32 v12, s5, s8, v12
	v_add_co_ci_u32_e64 v13, s5, s9, v13, s5
	global_store_b128 v[12:13], v[8:11], off
	s_and_not1_b32 exec_lo, exec_lo, s42
	s_cbranch_execz .LBB21_27
.LBB21_38:                              ;   Parent Loop BB21_13 Depth=1
                                        ;     Parent Loop BB21_23 Depth=2
                                        ;       Parent Loop BB21_28 Depth=3
                                        ; =>      This Inner Loop Header: Depth=4
	s_and_b32 vcc_lo, exec_lo, s26
	s_cbranch_vccz .LBB21_46
; %bb.39:                               ;   in Loop: Header=BB21_38 Depth=4
	v_add_nc_u32_e32 v10, v45, v40
	s_delay_alu instid0(VALU_DEP_1)
	v_mad_u64_u32 v[8:9], null, v10, s14, v[21:22]
	s_cbranch_execnz .LBB21_41
.LBB21_40:                              ;   in Loop: Header=BB21_38 Depth=4
	v_add_nc_u32_e32 v8, v42, v45
.LBB21_41:                              ;   in Loop: Header=BB21_38 Depth=4
	s_delay_alu instid0(VALU_DEP_1) | instskip(SKIP_1) | instid1(VALU_DEP_2)
	v_ashrrev_i32_e32 v9, 31, v8
	v_add_nc_u32_e32 v46, v45, v37
	v_lshlrev_b64 v[8:9], 4, v[8:9]
	s_delay_alu instid0(VALU_DEP_1) | instskip(NEXT) | instid1(VALU_DEP_2)
	v_add_co_u32 v8, vcc_lo, s8, v8
	v_add_co_ci_u32_e32 v9, vcc_lo, s9, v9, vcc_lo
	s_and_b32 vcc_lo, exec_lo, s26
	global_load_b128 v[8:11], v[8:9], off
	s_cbranch_vccz .LBB21_47
; %bb.42:                               ;   in Loop: Header=BB21_38 Depth=4
	v_mad_u64_u32 v[12:13], null, v46, s14, v[25:26]
	v_add_nc_u32_e32 v47, v44, v45
	s_cbranch_execnz .LBB21_44
.LBB21_43:                              ;   in Loop: Header=BB21_38 Depth=4
	v_add_nc_u32_e32 v12, v44, v45
.LBB21_44:                              ;   in Loop: Header=BB21_38 Depth=4
	s_delay_alu instid0(VALU_DEP_1) | instskip(NEXT) | instid1(VALU_DEP_1)
	v_ashrrev_i32_e32 v13, 31, v12
	v_lshlrev_b64 v[12:13], 4, v[12:13]
	s_delay_alu instid0(VALU_DEP_1) | instskip(NEXT) | instid1(VALU_DEP_2)
	v_add_co_u32 v12, vcc_lo, s8, v12
	v_add_co_ci_u32_e32 v13, vcc_lo, s9, v13, vcc_lo
	s_and_b32 vcc_lo, exec_lo, s26
	global_load_b128 v[12:15], v[12:13], off
	s_cbranch_vccz .LBB21_48
; %bb.45:                               ;   in Loop: Header=BB21_38 Depth=4
	v_mad_u64_u32 v[31:32], null, v46, s14, v[25:26]
	s_cbranch_execnz .LBB21_37
	s_branch .LBB21_36
.LBB21_46:                              ;   in Loop: Header=BB21_38 Depth=4
                                        ; implicit-def: $vgpr8
	s_branch .LBB21_40
.LBB21_47:                              ;   in Loop: Header=BB21_38 Depth=4
                                        ; implicit-def: $vgpr12
	v_add_nc_u32_e32 v47, v44, v45
	s_branch .LBB21_43
.LBB21_48:                              ;   in Loop: Header=BB21_38 Depth=4
                                        ; implicit-def: $vgpr31
	s_branch .LBB21_36
.LBB21_49:                              ;   in Loop: Header=BB21_28 Depth=3
                                        ; implicit-def: $vgpr4
	v_add_nc_u32_e32 v10, v25, v37
	s_branch .LBB21_30
.LBB21_50:                              ;   in Loop: Header=BB21_28 Depth=3
                                        ; implicit-def: $vgpr8
	s_branch .LBB21_33
.LBB21_51:                              ;   in Loop: Header=BB21_13 Depth=1
	s_or_b32 exec_lo, exec_lo, s38
.LBB21_52:                              ;   in Loop: Header=BB21_13 Depth=1
	v_subrev_nc_u32_e32 v12, s24, v39
	v_add_nc_u32_e32 v4, 1, v38
	s_mov_b32 s4, exec_lo
	s_delay_alu instid0(VALU_DEP_1)
	v_cmpx_lt_i32_e64 v4, v12
	s_cbranch_execz .LBB21_11
; %bb.53:                               ;   in Loop: Header=BB21_13 Depth=1
	v_mul_lo_u32 v13, s31, v4
	s_mov_b32 s5, 0
	s_branch .LBB21_56
.LBB21_54:                              ;   in Loop: Header=BB21_56 Depth=2
	s_or_b32 exec_lo, exec_lo, s38
.LBB21_55:                              ;   in Loop: Header=BB21_56 Depth=2
	v_add_nc_u32_e32 v4, 1, v4
	v_add_nc_u32_e32 v13, s31, v13
	s_delay_alu instid0(VALU_DEP_2) | instskip(SKIP_1) | instid1(SALU_CYCLE_1)
	v_cmp_ge_i32_e32 vcc_lo, v4, v12
	s_or_b32 s5, vcc_lo, s5
	s_and_not1_b32 exec_lo, exec_lo, s5
	s_cbranch_execz .LBB21_11
.LBB21_56:                              ;   Parent Loop BB21_13 Depth=1
                                        ; =>  This Loop Header: Depth=2
                                        ;       Child Loop BB21_61 Depth 3
                                        ;       Child Loop BB21_68 Depth 3
                                        ;         Child Loop BB21_71 Depth 4
                                        ;           Child Loop BB21_73 Depth 5
	v_ashrrev_i32_e32 v5, 31, v4
	s_waitcnt lgkmcnt(0)
	s_delay_alu instid0(VALU_DEP_1) | instskip(NEXT) | instid1(VALU_DEP_1)
	v_lshlrev_b64 v[0:1], 2, v[4:5]
	v_add_co_u32 v0, vcc_lo, s6, v0
	s_delay_alu instid0(VALU_DEP_2)
	v_add_co_ci_u32_e32 v1, vcc_lo, s7, v1, vcc_lo
	global_load_b32 v0, v[0:1], off
	v_mov_b32_e32 v1, s21
	s_and_saveexec_b32 s38, s2
	s_cbranch_execz .LBB21_58
; %bb.57:                               ;   in Loop: Header=BB21_56 Depth=2
	global_load_b32 v1, v[27:28], off
	s_waitcnt vmcnt(0)
	v_subrev_nc_u32_e32 v1, s24, v1
.LBB21_58:                              ;   in Loop: Header=BB21_56 Depth=2
	s_or_b32 exec_lo, exec_lo, s38
	s_waitcnt vmcnt(0)
	v_subrev_nc_u32_e32 v2, s24, v0
	v_mov_b32_e32 v3, v26
	s_mov_b32 s38, exec_lo
	s_delay_alu instid0(VALU_DEP_2)
	v_cmpx_lt_i32_e64 v1, v2
	s_cbranch_execz .LBB21_64
; %bb.59:                               ;   in Loop: Header=BB21_56 Depth=2
	v_mov_b32_e32 v0, v26
	s_mov_b32 s39, 0
	s_branch .LBB21_61
	.p2align	6
.LBB21_60:                              ;   in Loop: Header=BB21_61 Depth=3
	s_or_b32 exec_lo, exec_lo, s40
	s_delay_alu instid0(VALU_DEP_1) | instskip(SKIP_2) | instid1(SALU_CYCLE_1)
	v_cmp_ge_i32_e32 vcc_lo, v1, v2
	v_mov_b32_e32 v0, v3
	s_or_b32 s39, vcc_lo, s39
	s_and_not1_b32 exec_lo, exec_lo, s39
	s_cbranch_execz .LBB21_63
.LBB21_61:                              ;   Parent Loop BB21_13 Depth=1
                                        ;     Parent Loop BB21_56 Depth=2
                                        ; =>    This Inner Loop Header: Depth=3
	s_delay_alu instid0(VALU_DEP_1) | instskip(SKIP_2) | instid1(VALU_DEP_2)
	v_add_nc_u32_e32 v3, 64, v0
	v_mov_b32_e32 v1, s21
	s_mov_b32 s40, exec_lo
	v_cmpx_lt_i32_e64 v3, v33
	s_cbranch_execz .LBB21_60
; %bb.62:                               ;   in Loop: Header=BB21_61 Depth=3
	v_ashrrev_i32_e32 v1, 31, v0
	s_delay_alu instid0(VALU_DEP_1) | instskip(NEXT) | instid1(VALU_DEP_1)
	v_lshlrev_b64 v[0:1], 2, v[0:1]
	v_add_co_u32 v0, vcc_lo, s29, v0
	s_delay_alu instid0(VALU_DEP_2)
	v_add_co_ci_u32_e32 v1, vcc_lo, s30, v1, vcc_lo
	global_load_b32 v0, v[0:1], off
	s_waitcnt vmcnt(0)
	v_subrev_nc_u32_e32 v1, s24, v0
	s_branch .LBB21_60
.LBB21_63:                              ;   in Loop: Header=BB21_56 Depth=2
	s_or_b32 exec_lo, exec_lo, s39
.LBB21_64:                              ;   in Loop: Header=BB21_56 Depth=2
	s_delay_alu instid0(SALU_CYCLE_1)
	s_or_b32 exec_lo, exec_lo, s38
	v_cmp_eq_u32_e32 vcc_lo, v1, v2
	s_cbranch_vccz .LBB21_55
; %bb.65:                               ;   in Loop: Header=BB21_56 Depth=2
	s_ctz_i32_b32 s38, vcc_lo
	s_delay_alu instid0(SALU_CYCLE_1) | instskip(NEXT) | instid1(SALU_CYCLE_1)
	s_lshl_b32 s38, s38, 2
	v_mov_b32_e32 v0, s38
	ds_bpermute_b32 v0, v0, v3
	s_and_saveexec_b32 s38, s0
	s_cbranch_execz .LBB21_54
; %bb.66:                               ;   in Loop: Header=BB21_56 Depth=2
	v_mul_lo_u32 v14, v4, s14
	s_waitcnt lgkmcnt(0)
	v_mul_lo_u32 v15, v0, s14
	v_mov_b32_e32 v21, v36
	v_mov_b32_e32 v5, v19
	s_mov_b32 s39, 0
	s_branch .LBB21_68
.LBB21_67:                              ;   in Loop: Header=BB21_68 Depth=3
	v_add_nc_u32_e32 v5, 64, v5
	v_add_nc_u32_e32 v21, s33, v21
	s_delay_alu instid0(VALU_DEP_2) | instskip(SKIP_1) | instid1(SALU_CYCLE_1)
	v_cmp_le_i32_e32 vcc_lo, s14, v5
	s_or_b32 s39, vcc_lo, s39
	s_and_not1_b32 exec_lo, exec_lo, s39
	s_cbranch_execz .LBB21_54
.LBB21_68:                              ;   Parent Loop BB21_13 Depth=1
                                        ;     Parent Loop BB21_56 Depth=2
                                        ; =>    This Loop Header: Depth=3
                                        ;         Child Loop BB21_71 Depth 4
                                        ;           Child Loop BB21_73 Depth 5
	s_delay_alu instid0(VALU_DEP_1) | instskip(SKIP_2) | instid1(VALU_DEP_2)
	v_add_nc_u32_e32 v0, v5, v15
	v_mov_b32_e32 v29, v13
	s_mov_b32 s40, 0
	v_mul_lo_u32 v25, v0, s14
	s_branch .LBB21_71
.LBB21_69:                              ;   in Loop: Header=BB21_71 Depth=4
	v_add_nc_u32_e32 v0, s40, v25
.LBB21_70:                              ;   in Loop: Header=BB21_71 Depth=4
	s_delay_alu instid0(VALU_DEP_1) | instskip(SKIP_2) | instid1(SALU_CYCLE_1)
	v_ashrrev_i32_e32 v1, 31, v0
	v_add_nc_u32_e32 v29, 1, v29
	s_add_i32 s40, s40, 1
	s_cmp_eq_u32 s40, s14
	s_delay_alu instid0(VALU_DEP_2) | instskip(NEXT) | instid1(VALU_DEP_1)
	v_lshlrev_b64 v[0:1], 4, v[0:1]
	v_add_co_u32 v10, vcc_lo, s8, v0
	s_delay_alu instid0(VALU_DEP_2)
	v_add_co_ci_u32_e32 v11, vcc_lo, s9, v1, vcc_lo
	global_load_b128 v[0:3], v[10:11], off
	s_waitcnt vmcnt(0)
	v_add_f64 v[0:1], v[0:1], -v[6:7]
	v_add_f64 v[2:3], v[2:3], -v[8:9]
	global_store_b128 v[10:11], v[0:3], off
	s_cbranch_scc1 .LBB21_67
.LBB21_71:                              ;   Parent Loop BB21_13 Depth=1
                                        ;     Parent Loop BB21_56 Depth=2
                                        ;       Parent Loop BB21_68 Depth=3
                                        ; =>      This Loop Header: Depth=4
                                        ;           Child Loop BB21_73 Depth 5
	v_add_nc_u32_e32 v0, s40, v14
	v_dual_mov_b32 v6, 0 :: v_dual_mov_b32 v31, v29
	v_mov_b32_e32 v7, 0
	s_mov_b32 s41, 0
	s_delay_alu instid0(VALU_DEP_3) | instskip(NEXT) | instid1(VALU_DEP_2)
	v_mul_lo_u32 v30, v0, s14
	v_dual_mov_b32 v9, v7 :: v_dual_mov_b32 v8, v6
	s_set_inst_prefetch_distance 0x1
	s_branch .LBB21_73
	.p2align	6
.LBB21_72:                              ;   in Loop: Header=BB21_73 Depth=5
	s_delay_alu instid0(VALU_DEP_1) | instskip(SKIP_2) | instid1(SALU_CYCLE_1)
	v_ashrrev_i32_e32 v11, 31, v10
	v_add_nc_u32_e32 v31, s14, v31
	s_add_i32 s41, s41, 1
	s_cmp_eq_u32 s14, s41
	s_delay_alu instid0(VALU_DEP_2) | instskip(NEXT) | instid1(VALU_DEP_1)
	v_lshlrev_b64 v[10:11], 4, v[10:11]
	v_add_co_u32 v10, vcc_lo, s8, v10
	s_delay_alu instid0(VALU_DEP_2) | instskip(SKIP_4) | instid1(VALU_DEP_2)
	v_add_co_ci_u32_e32 v11, vcc_lo, s9, v11, vcc_lo
	global_load_b128 v[38:41], v[10:11], off
	s_waitcnt vmcnt(0)
	v_fma_f64 v[6:7], v[0:1], v[38:39], v[6:7]
	v_fma_f64 v[8:9], v[2:3], v[38:39], v[8:9]
	v_fma_f64 v[6:7], -v[2:3], v[40:41], v[6:7]
	s_delay_alu instid0(VALU_DEP_2)
	v_fma_f64 v[8:9], v[0:1], v[40:41], v[8:9]
	s_cbranch_scc1 .LBB21_79
.LBB21_73:                              ;   Parent Loop BB21_13 Depth=1
                                        ;     Parent Loop BB21_56 Depth=2
                                        ;       Parent Loop BB21_68 Depth=3
                                        ;         Parent Loop BB21_71 Depth=4
                                        ; =>        This Inner Loop Header: Depth=5
	s_and_b32 vcc_lo, exec_lo, s26
	s_cbranch_vccz .LBB21_78
; %bb.74:                               ;   in Loop: Header=BB21_73 Depth=5
	v_add_nc_u32_e32 v2, s41, v37
	s_delay_alu instid0(VALU_DEP_1)
	v_mad_u64_u32 v[0:1], null, v2, s14, v[5:6]
	s_cbranch_execnz .LBB21_76
.LBB21_75:                              ;   in Loop: Header=BB21_73 Depth=5
	v_add_nc_u32_e32 v0, s41, v21
.LBB21_76:                              ;   in Loop: Header=BB21_73 Depth=5
	s_delay_alu instid0(VALU_DEP_1) | instskip(SKIP_1) | instid1(VALU_DEP_2)
	v_ashrrev_i32_e32 v1, 31, v0
	v_mov_b32_e32 v10, v31
	v_lshlrev_b64 v[0:1], 4, v[0:1]
	s_delay_alu instid0(VALU_DEP_1) | instskip(NEXT) | instid1(VALU_DEP_2)
	v_add_co_u32 v0, vcc_lo, s8, v0
	v_add_co_ci_u32_e32 v1, vcc_lo, s9, v1, vcc_lo
	s_and_not1_b32 vcc_lo, exec_lo, s26
	global_load_b128 v[0:3], v[0:1], off
	s_cbranch_vccnz .LBB21_72
; %bb.77:                               ;   in Loop: Header=BB21_73 Depth=5
	v_add_nc_u32_e32 v10, s41, v30
	s_branch .LBB21_72
.LBB21_78:                              ;   in Loop: Header=BB21_73 Depth=5
                                        ; implicit-def: $vgpr0
	s_branch .LBB21_75
.LBB21_79:                              ;   in Loop: Header=BB21_71 Depth=4
	s_set_inst_prefetch_distance 0x2
	s_and_b32 vcc_lo, exec_lo, s26
	s_cbranch_vccz .LBB21_81
; %bb.80:                               ;   in Loop: Header=BB21_71 Depth=4
	v_add_nc_u32_e32 v2, s40, v15
	s_delay_alu instid0(VALU_DEP_1)
	v_mad_u64_u32 v[0:1], null, v2, s14, v[5:6]
	s_cbranch_execnz .LBB21_70
	s_branch .LBB21_69
.LBB21_81:                              ;   in Loop: Header=BB21_71 Depth=4
                                        ; implicit-def: $vgpr0
	s_branch .LBB21_69
.LBB21_82:
	s_or_b32 exec_lo, exec_lo, s34
	s_delay_alu instid0(SALU_CYCLE_1)
	s_and_b32 s3, s35, exec_lo
.LBB21_83:
	s_or_b32 exec_lo, exec_lo, s22
	v_ashrrev_i32_e32 v21, 31, v20
	s_waitcnt lgkmcnt(0)
	s_cmp_gt_i32 s14, 0
	s_cselect_b32 s4, -1, 0
	s_delay_alu instid0(VALU_DEP_1) | instskip(NEXT) | instid1(VALU_DEP_1)
	v_lshlrev_b64 v[0:1], 2, v[20:21]
	v_add_co_u32 v0, vcc_lo, s6, v0
	s_delay_alu instid0(VALU_DEP_2) | instskip(SKIP_4) | instid1(VALU_DEP_1)
	v_add_co_ci_u32_e32 v1, vcc_lo, s7, v1, vcc_lo
	s_mov_b32 s6, 0
	global_load_b32 v0, v[0:1], off
	s_waitcnt vmcnt(0)
	v_subrev_nc_u32_e32 v0, s24, v0
	v_cmp_eq_u32_e32 vcc_lo, v0, v16
	s_and_b32 s0, s4, vcc_lo
	s_delay_alu instid0(SALU_CYCLE_1)
	s_and_saveexec_b32 s5, s0
	s_cbranch_execz .LBB21_129
; %bb.84:
	v_cvt_f64_f32_e32 v[0:1], v35
	v_mul_lo_u32 v29, v20, s14
	s_cmp_eq_u64 s[16:17], 8
	v_cmp_eq_u32_e64 s0, 0, v19
	s_cselect_b32 vcc_lo, -1, 0
	v_mov_b32_e32 v21, 0
	v_mov_b32_e32 v31, 16
	s_cmp_lg_u32 s20, 0
	s_mov_b32 s16, s3
	v_add3_u32 v30, v29, v19, 1
	s_cselect_b32 s7, -1, 0
	s_lshl_b32 s10, s14, 6
                                        ; implicit-def: $sgpr11
	v_dual_cndmask_b32 v22, v0, v22 :: v_dual_cndmask_b32 v23, v1, v23
	s_branch .LBB21_86
.LBB21_85:                              ;   in Loop: Header=BB21_86 Depth=1
	s_or_b32 exec_lo, exec_lo, s1
	s_delay_alu instid0(VALU_DEP_1) | instskip(SKIP_4) | instid1(SALU_CYCLE_1)
	v_cmp_eq_u32_e32 vcc_lo, s14, v35
	v_mov_b32_e32 v21, v35
	s_or_b32 s6, vcc_lo, s6
	s_and_not1_b32 s1, s11, exec_lo
	s_and_b32 s2, s16, exec_lo
	s_or_b32 s11, s1, s2
	s_and_not1_b32 exec_lo, exec_lo, s6
	s_cbranch_execz .LBB21_128
.LBB21_86:                              ; =>This Loop Header: Depth=1
                                        ;     Child Loop BB21_102 Depth 2
                                        ;       Child Loop BB21_112 Depth 3
	v_add_nc_u32_e32 v0, v21, v29
	s_mov_b32 s1, -1
	s_mov_b32 s17, 0
	s_mov_b32 s2, 0
	s_delay_alu instid0(VALU_DEP_1) | instskip(NEXT) | instid1(VALU_DEP_1)
	v_mul_lo_u32 v32, v0, s14
	v_add_nc_u32_e32 v0, v32, v21
	s_delay_alu instid0(VALU_DEP_1) | instskip(NEXT) | instid1(VALU_DEP_1)
	v_ashrrev_i32_e32 v1, 31, v0
	v_lshlrev_b64 v[0:1], 4, v[0:1]
	s_delay_alu instid0(VALU_DEP_1) | instskip(NEXT) | instid1(VALU_DEP_2)
	v_add_co_u32 v4, vcc_lo, s8, v0
	v_add_co_ci_u32_e32 v5, vcc_lo, s9, v1, vcc_lo
	v_cmp_ne_u32_e32 vcc_lo, 1, v34
	global_load_b128 v[0:3], v[4:5], off
	s_waitcnt vmcnt(0)
	scratch_store_b128 off, v[0:3], off offset:16
	s_cbranch_vccnz .LBB21_96
; %bb.87:                               ;   in Loop: Header=BB21_86 Depth=1
	v_cmp_gt_f64_e32 vcc_lo, 0, v[0:1]
	v_cmp_gt_f64_e64 s1, 0, v[2:3]
	v_xor_b32_e32 v6, 0x80000000, v1
	v_xor_b32_e32 v8, 0x80000000, v3
                                        ; implicit-def: $vgpr10_vgpr11
	s_delay_alu instid0(VALU_DEP_2) | instskip(NEXT) | instid1(VALU_DEP_2)
	v_dual_cndmask_b32 v7, v1, v6 :: v_dual_cndmask_b32 v6, v0, v0
	v_cndmask_b32_e64 v9, v3, v8, s1
	v_cndmask_b32_e64 v8, v2, v2, s1
	s_mov_b32 s1, exec_lo
	s_delay_alu instid0(VALU_DEP_1)
	v_cmpx_ngt_f64_e32 v[6:7], v[8:9]
	s_xor_b32 s1, exec_lo, s1
	s_cbranch_execz .LBB21_91
; %bb.88:                               ;   in Loop: Header=BB21_86 Depth=1
	v_mov_b32_e32 v10, 0
	v_mov_b32_e32 v11, 0
	s_mov_b32 s2, exec_lo
	v_cmpx_neq_f64_e32 0, v[2:3]
	s_cbranch_execz .LBB21_90
; %bb.89:                               ;   in Loop: Header=BB21_86 Depth=1
	v_div_scale_f64 v[10:11], null, v[8:9], v[8:9], v[6:7]
	v_div_scale_f64 v[24:25], vcc_lo, v[6:7], v[8:9], v[6:7]
	s_delay_alu instid0(VALU_DEP_2) | instskip(SKIP_2) | instid1(VALU_DEP_1)
	v_rcp_f64_e32 v[12:13], v[10:11]
	s_waitcnt_depctr 0xfff
	v_fma_f64 v[14:15], -v[10:11], v[12:13], 1.0
	v_fma_f64 v[12:13], v[12:13], v[14:15], v[12:13]
	s_delay_alu instid0(VALU_DEP_1) | instskip(NEXT) | instid1(VALU_DEP_1)
	v_fma_f64 v[14:15], -v[10:11], v[12:13], 1.0
	v_fma_f64 v[12:13], v[12:13], v[14:15], v[12:13]
	s_delay_alu instid0(VALU_DEP_1) | instskip(NEXT) | instid1(VALU_DEP_1)
	v_mul_f64 v[14:15], v[24:25], v[12:13]
	v_fma_f64 v[10:11], -v[10:11], v[14:15], v[24:25]
	s_delay_alu instid0(VALU_DEP_1) | instskip(NEXT) | instid1(VALU_DEP_1)
	v_div_fmas_f64 v[10:11], v[10:11], v[12:13], v[14:15]
	v_div_fixup_f64 v[6:7], v[10:11], v[8:9], v[6:7]
	s_delay_alu instid0(VALU_DEP_1) | instskip(NEXT) | instid1(VALU_DEP_1)
	v_fma_f64 v[6:7], v[6:7], v[6:7], 1.0
	v_cmp_gt_f64_e32 vcc_lo, 0x10000000, v[6:7]
	v_cndmask_b32_e64 v10, 0, 1, vcc_lo
	s_delay_alu instid0(VALU_DEP_1) | instskip(NEXT) | instid1(VALU_DEP_1)
	v_lshlrev_b32_e32 v10, 8, v10
	v_ldexp_f64 v[6:7], v[6:7], v10
	s_delay_alu instid0(VALU_DEP_1) | instskip(SKIP_3) | instid1(VALU_DEP_1)
	v_rsq_f64_e32 v[10:11], v[6:7]
	s_waitcnt_depctr 0xfff
	v_mul_f64 v[12:13], v[6:7], v[10:11]
	v_mul_f64 v[10:11], v[10:11], 0.5
	v_fma_f64 v[14:15], -v[10:11], v[12:13], 0.5
	s_delay_alu instid0(VALU_DEP_1) | instskip(SKIP_1) | instid1(VALU_DEP_2)
	v_fma_f64 v[12:13], v[12:13], v[14:15], v[12:13]
	v_fma_f64 v[10:11], v[10:11], v[14:15], v[10:11]
	v_fma_f64 v[14:15], -v[12:13], v[12:13], v[6:7]
	s_delay_alu instid0(VALU_DEP_1) | instskip(NEXT) | instid1(VALU_DEP_1)
	v_fma_f64 v[12:13], v[14:15], v[10:11], v[12:13]
	v_fma_f64 v[14:15], -v[12:13], v[12:13], v[6:7]
	s_delay_alu instid0(VALU_DEP_1) | instskip(SKIP_2) | instid1(VALU_DEP_2)
	v_fma_f64 v[10:11], v[14:15], v[10:11], v[12:13]
	v_cndmask_b32_e64 v12, 0, 0xffffff80, vcc_lo
	v_cmp_class_f64_e64 vcc_lo, v[6:7], 0x260
	v_ldexp_f64 v[10:11], v[10:11], v12
	s_delay_alu instid0(VALU_DEP_1) | instskip(NEXT) | instid1(VALU_DEP_1)
	v_dual_cndmask_b32 v7, v11, v7 :: v_dual_cndmask_b32 v6, v10, v6
	v_mul_f64 v[10:11], v[8:9], v[6:7]
.LBB21_90:                              ;   in Loop: Header=BB21_86 Depth=1
	s_or_b32 exec_lo, exec_lo, s2
                                        ; implicit-def: $vgpr6_vgpr7
                                        ; implicit-def: $vgpr8_vgpr9
.LBB21_91:                              ;   in Loop: Header=BB21_86 Depth=1
	s_and_not1_saveexec_b32 s1, s1
	s_cbranch_execz .LBB21_93
; %bb.92:                               ;   in Loop: Header=BB21_86 Depth=1
	v_div_scale_f64 v[10:11], null, v[6:7], v[6:7], v[8:9]
	v_div_scale_f64 v[24:25], vcc_lo, v[8:9], v[6:7], v[8:9]
	s_delay_alu instid0(VALU_DEP_2) | instskip(SKIP_2) | instid1(VALU_DEP_1)
	v_rcp_f64_e32 v[12:13], v[10:11]
	s_waitcnt_depctr 0xfff
	v_fma_f64 v[14:15], -v[10:11], v[12:13], 1.0
	v_fma_f64 v[12:13], v[12:13], v[14:15], v[12:13]
	s_delay_alu instid0(VALU_DEP_1) | instskip(NEXT) | instid1(VALU_DEP_1)
	v_fma_f64 v[14:15], -v[10:11], v[12:13], 1.0
	v_fma_f64 v[12:13], v[12:13], v[14:15], v[12:13]
	s_delay_alu instid0(VALU_DEP_1) | instskip(NEXT) | instid1(VALU_DEP_1)
	v_mul_f64 v[14:15], v[24:25], v[12:13]
	v_fma_f64 v[10:11], -v[10:11], v[14:15], v[24:25]
	s_delay_alu instid0(VALU_DEP_1) | instskip(NEXT) | instid1(VALU_DEP_1)
	v_div_fmas_f64 v[10:11], v[10:11], v[12:13], v[14:15]
	v_div_fixup_f64 v[8:9], v[10:11], v[6:7], v[8:9]
	s_delay_alu instid0(VALU_DEP_1) | instskip(NEXT) | instid1(VALU_DEP_1)
	v_fma_f64 v[8:9], v[8:9], v[8:9], 1.0
	v_cmp_gt_f64_e32 vcc_lo, 0x10000000, v[8:9]
	v_cndmask_b32_e64 v10, 0, 1, vcc_lo
	s_delay_alu instid0(VALU_DEP_1) | instskip(NEXT) | instid1(VALU_DEP_1)
	v_lshlrev_b32_e32 v10, 8, v10
	v_ldexp_f64 v[8:9], v[8:9], v10
	s_delay_alu instid0(VALU_DEP_1) | instskip(SKIP_3) | instid1(VALU_DEP_1)
	v_rsq_f64_e32 v[10:11], v[8:9]
	s_waitcnt_depctr 0xfff
	v_mul_f64 v[12:13], v[8:9], v[10:11]
	v_mul_f64 v[10:11], v[10:11], 0.5
	v_fma_f64 v[14:15], -v[10:11], v[12:13], 0.5
	s_delay_alu instid0(VALU_DEP_1) | instskip(SKIP_1) | instid1(VALU_DEP_2)
	v_fma_f64 v[12:13], v[12:13], v[14:15], v[12:13]
	v_fma_f64 v[10:11], v[10:11], v[14:15], v[10:11]
	v_fma_f64 v[14:15], -v[12:13], v[12:13], v[8:9]
	s_delay_alu instid0(VALU_DEP_1) | instskip(NEXT) | instid1(VALU_DEP_1)
	v_fma_f64 v[12:13], v[14:15], v[10:11], v[12:13]
	v_fma_f64 v[14:15], -v[12:13], v[12:13], v[8:9]
	s_delay_alu instid0(VALU_DEP_1) | instskip(SKIP_2) | instid1(VALU_DEP_2)
	v_fma_f64 v[10:11], v[14:15], v[10:11], v[12:13]
	v_cndmask_b32_e64 v12, 0, 0xffffff80, vcc_lo
	v_cmp_class_f64_e64 vcc_lo, v[8:9], 0x260
	v_ldexp_f64 v[10:11], v[10:11], v12
	s_delay_alu instid0(VALU_DEP_1) | instskip(NEXT) | instid1(VALU_DEP_1)
	v_dual_cndmask_b32 v9, v11, v9 :: v_dual_cndmask_b32 v8, v10, v8
	v_mul_f64 v[10:11], v[6:7], v[8:9]
.LBB21_93:                              ;   in Loop: Header=BB21_86 Depth=1
	s_or_b32 exec_lo, exec_lo, s1
	s_delay_alu instid0(VALU_DEP_1)
	v_cmp_le_f64_e32 vcc_lo, v[10:11], v[22:23]
	v_cndmask_b32_e64 v6, v31, 0, vcc_lo
	scratch_load_b128 v[7:10], v6, off
	s_waitcnt vmcnt(0)
	scratch_store_b128 off, v[7:10], off offset:16
	s_and_saveexec_b32 s1, s0
	s_cbranch_execz .LBB21_95
; %bb.94:                               ;   in Loop: Header=BB21_86 Depth=1
	scratch_load_b128 v[6:9], v6, off
	s_waitcnt vmcnt(0)
	global_store_b128 v[4:5], v[6:9], off
.LBB21_95:                              ;   in Loop: Header=BB21_86 Depth=1
	s_or_b32 exec_lo, exec_lo, s1
	s_mov_b32 s2, -1
	s_branch .LBB21_98
.LBB21_96:                              ;   in Loop: Header=BB21_86 Depth=1
	s_and_b32 vcc_lo, exec_lo, s1
	s_cbranch_vccz .LBB21_98
; %bb.97:                               ;   in Loop: Header=BB21_86 Depth=1
	v_cmp_neq_f64_e32 vcc_lo, 0, v[0:1]
	v_cmp_neq_f64_e64 s1, 0, v[2:3]
	s_and_not1_b32 s2, s2, exec_lo
	s_mov_b32 s17, -1
	s_delay_alu instid0(VALU_DEP_1) | instskip(NEXT) | instid1(SALU_CYCLE_1)
	s_or_b32 s1, vcc_lo, s1
	s_and_b32 s1, s1, exec_lo
	s_delay_alu instid0(SALU_CYCLE_1)
	s_or_b32 s2, s2, s1
.LBB21_98:                              ;   in Loop: Header=BB21_86 Depth=1
                                        ; implicit-def: $sgpr1
                                        ; implicit-def: $vgpr35
	s_delay_alu instid0(SALU_CYCLE_1) | instskip(NEXT) | instid1(SALU_CYCLE_1)
	s_and_saveexec_b32 s21, s2
	s_xor_b32 s21, exec_lo, s21
	s_cbranch_execz .LBB21_126
; %bb.99:                               ;   in Loop: Header=BB21_86 Depth=1
	v_add_nc_u32_e32 v35, 1, v21
	s_mov_b32 s22, exec_lo
	s_delay_alu instid0(VALU_DEP_1) | instskip(NEXT) | instid1(VALU_DEP_1)
	v_add_nc_u32_e32 v24, v35, v19
	v_cmpx_gt_i32_e64 s14, v24
	s_cbranch_execz .LBB21_125
; %bb.100:                              ;   in Loop: Header=BB21_86 Depth=1
	scratch_load_b128 v[0:3], off, off offset:16
	v_cmp_gt_i32_e64 s1, s14, v35
	s_mov_b32 s23, 0
	s_waitcnt vmcnt(0)
	v_mul_f64 v[4:5], v[2:3], v[2:3]
	s_delay_alu instid0(VALU_DEP_1) | instskip(NEXT) | instid1(VALU_DEP_1)
	v_fma_f64 v[4:5], v[0:1], v[0:1], v[4:5]
	v_div_scale_f64 v[6:7], null, v[4:5], v[4:5], 1.0
	s_delay_alu instid0(VALU_DEP_1) | instskip(SKIP_2) | instid1(VALU_DEP_1)
	v_rcp_f64_e32 v[8:9], v[6:7]
	s_waitcnt_depctr 0xfff
	v_fma_f64 v[10:11], -v[6:7], v[8:9], 1.0
	v_fma_f64 v[8:9], v[8:9], v[10:11], v[8:9]
	s_delay_alu instid0(VALU_DEP_1) | instskip(NEXT) | instid1(VALU_DEP_1)
	v_fma_f64 v[10:11], -v[6:7], v[8:9], 1.0
	v_fma_f64 v[8:9], v[8:9], v[10:11], v[8:9]
	v_div_scale_f64 v[10:11], vcc_lo, 1.0, v[4:5], 1.0
	s_delay_alu instid0(VALU_DEP_1) | instskip(NEXT) | instid1(VALU_DEP_1)
	v_mul_f64 v[12:13], v[10:11], v[8:9]
	v_fma_f64 v[6:7], -v[6:7], v[12:13], v[10:11]
	s_delay_alu instid0(VALU_DEP_1) | instskip(NEXT) | instid1(VALU_DEP_1)
	v_div_fmas_f64 v[6:7], v[6:7], v[8:9], v[12:13]
	v_div_fixup_f64 v[25:26], v[6:7], v[4:5], 1.0
	v_add_nc_u32_e32 v4, v30, v21
	s_delay_alu instid0(VALU_DEP_1)
	v_mul_lo_u32 v36, s14, v4
	s_branch .LBB21_102
.LBB21_101:                             ;   in Loop: Header=BB21_102 Depth=2
	s_or_b32 exec_lo, exec_lo, s25
	v_add_nc_u32_e32 v24, 64, v24
	v_add_nc_u32_e32 v36, s10, v36
	s_delay_alu instid0(VALU_DEP_2) | instskip(SKIP_1) | instid1(SALU_CYCLE_1)
	v_cmp_le_i32_e32 vcc_lo, s14, v24
	s_or_b32 s23, vcc_lo, s23
	s_and_not1_b32 exec_lo, exec_lo, s23
	s_cbranch_execz .LBB21_125
.LBB21_102:                             ;   Parent Loop BB21_86 Depth=1
                                        ; =>  This Loop Header: Depth=2
                                        ;       Child Loop BB21_112 Depth 3
	v_add_nc_u32_e32 v8, v24, v32
	s_and_b32 vcc_lo, exec_lo, s7
	s_cbranch_vccz .LBB21_123
; %bb.103:                              ;   in Loop: Header=BB21_102 Depth=2
	v_add_nc_u32_e32 v4, v24, v32
	s_cbranch_execnz .LBB21_105
.LBB21_104:                             ;   in Loop: Header=BB21_102 Depth=2
	v_add_nc_u32_e32 v6, v24, v29
	s_delay_alu instid0(VALU_DEP_1)
	v_mad_u64_u32 v[4:5], null, v6, s14, v[21:22]
.LBB21_105:                             ;   in Loop: Header=BB21_102 Depth=2
	s_delay_alu instid0(VALU_DEP_1) | instskip(NEXT) | instid1(VALU_DEP_1)
	v_ashrrev_i32_e32 v5, 31, v4
	v_lshlrev_b64 v[4:5], 4, v[4:5]
	s_delay_alu instid0(VALU_DEP_1) | instskip(NEXT) | instid1(VALU_DEP_2)
	v_add_co_u32 v4, vcc_lo, s8, v4
	v_add_co_ci_u32_e32 v5, vcc_lo, s9, v5, vcc_lo
	s_and_b32 vcc_lo, exec_lo, s7
	global_load_b128 v[4:7], v[4:5], off
	s_cbranch_vccz .LBB21_124
; %bb.106:                              ;   in Loop: Header=BB21_102 Depth=2
	s_cbranch_execnz .LBB21_108
.LBB21_107:                             ;   in Loop: Header=BB21_102 Depth=2
	v_add_nc_u32_e32 v10, v24, v29
	s_delay_alu instid0(VALU_DEP_1)
	v_mad_u64_u32 v[8:9], null, v10, s14, v[21:22]
.LBB21_108:                             ;   in Loop: Header=BB21_102 Depth=2
	s_waitcnt vmcnt(0)
	v_mul_f64 v[9:10], v[2:3], v[6:7]
	v_mul_f64 v[11:12], v[2:3], -v[4:5]
	s_delay_alu instid0(VALU_DEP_2) | instskip(NEXT) | instid1(VALU_DEP_2)
	v_fma_f64 v[4:5], v[4:5], v[0:1], v[9:10]
	v_fma_f64 v[6:7], v[6:7], v[0:1], v[11:12]
	v_ashrrev_i32_e32 v9, 31, v8
	s_delay_alu instid0(VALU_DEP_1) | instskip(NEXT) | instid1(VALU_DEP_1)
	v_lshlrev_b64 v[8:9], 4, v[8:9]
	v_add_co_u32 v8, vcc_lo, s8, v8
	s_delay_alu instid0(VALU_DEP_2)
	v_add_co_ci_u32_e32 v9, vcc_lo, s9, v9, vcc_lo
	v_mul_f64 v[4:5], v[25:26], v[4:5]
	v_mul_f64 v[6:7], v[25:26], v[6:7]
	global_store_b128 v[8:9], v[4:7], off
	s_and_saveexec_b32 s25, s1
	s_cbranch_execz .LBB21_101
; %bb.109:                              ;   in Loop: Header=BB21_102 Depth=2
	v_mov_b32_e32 v37, v35
	s_mov_b32 s26, 0
	s_branch .LBB21_112
.LBB21_110:                             ;   in Loop: Header=BB21_112 Depth=3
	v_add_nc_u32_e32 v27, v36, v37
.LBB21_111:                             ;   in Loop: Header=BB21_112 Depth=3
	s_waitcnt vmcnt(0)
	v_fma_f64 v[12:13], -v[4:5], v[8:9], v[12:13]
	v_fma_f64 v[14:15], -v[6:7], v[8:9], v[14:15]
	s_delay_alu instid0(VALU_DEP_3) | instskip(SKIP_1) | instid1(VALU_DEP_1)
	v_ashrrev_i32_e32 v28, 31, v27
	v_add_nc_u32_e32 v37, 1, v37
	v_cmp_le_i32_e32 vcc_lo, s14, v37
	s_or_b32 s26, vcc_lo, s26
	v_fma_f64 v[8:9], v[6:7], v[10:11], v[12:13]
	v_fma_f64 v[10:11], -v[4:5], v[10:11], v[14:15]
	v_lshlrev_b64 v[12:13], 4, v[27:28]
	s_delay_alu instid0(VALU_DEP_1) | instskip(NEXT) | instid1(VALU_DEP_1)
	v_add_co_u32 v12, s2, s8, v12
	v_add_co_ci_u32_e64 v13, s2, s9, v13, s2
	global_store_b128 v[12:13], v[8:11], off
	s_and_not1_b32 exec_lo, exec_lo, s26
	s_cbranch_execz .LBB21_101
.LBB21_112:                             ;   Parent Loop BB21_86 Depth=1
                                        ;     Parent Loop BB21_102 Depth=2
                                        ; =>    This Inner Loop Header: Depth=3
	s_delay_alu instid0(VALU_DEP_1)
	v_add_nc_u32_e32 v38, v37, v29
	s_and_b32 vcc_lo, exec_lo, s7
	s_cbranch_vccz .LBB21_120
; %bb.113:                              ;   in Loop: Header=BB21_112 Depth=3
	s_delay_alu instid0(VALU_DEP_1)
	v_mad_u64_u32 v[8:9], null, v38, s14, v[21:22]
	s_cbranch_execnz .LBB21_115
.LBB21_114:                             ;   in Loop: Header=BB21_112 Depth=3
	v_add_nc_u32_e32 v8, v32, v37
.LBB21_115:                             ;   in Loop: Header=BB21_112 Depth=3
	s_delay_alu instid0(VALU_DEP_1) | instskip(NEXT) | instid1(VALU_DEP_1)
	v_ashrrev_i32_e32 v9, 31, v8
	v_lshlrev_b64 v[8:9], 4, v[8:9]
	s_delay_alu instid0(VALU_DEP_1) | instskip(NEXT) | instid1(VALU_DEP_2)
	v_add_co_u32 v8, vcc_lo, s8, v8
	v_add_co_ci_u32_e32 v9, vcc_lo, s9, v9, vcc_lo
	s_and_b32 vcc_lo, exec_lo, s7
	global_load_b128 v[8:11], v[8:9], off
	s_cbranch_vccz .LBB21_121
; %bb.116:                              ;   in Loop: Header=BB21_112 Depth=3
	v_mad_u64_u32 v[12:13], null, v38, s14, v[24:25]
	s_cbranch_execnz .LBB21_118
.LBB21_117:                             ;   in Loop: Header=BB21_112 Depth=3
	v_add_nc_u32_e32 v12, v36, v37
.LBB21_118:                             ;   in Loop: Header=BB21_112 Depth=3
	s_delay_alu instid0(VALU_DEP_1) | instskip(NEXT) | instid1(VALU_DEP_1)
	v_ashrrev_i32_e32 v13, 31, v12
	v_lshlrev_b64 v[12:13], 4, v[12:13]
	s_delay_alu instid0(VALU_DEP_1) | instskip(NEXT) | instid1(VALU_DEP_2)
	v_add_co_u32 v12, vcc_lo, s8, v12
	v_add_co_ci_u32_e32 v13, vcc_lo, s9, v13, vcc_lo
	s_and_b32 vcc_lo, exec_lo, s7
	global_load_b128 v[12:15], v[12:13], off
	s_cbranch_vccz .LBB21_122
; %bb.119:                              ;   in Loop: Header=BB21_112 Depth=3
	v_mad_u64_u32 v[27:28], null, v38, s14, v[24:25]
	s_cbranch_execnz .LBB21_111
	s_branch .LBB21_110
.LBB21_120:                             ;   in Loop: Header=BB21_112 Depth=3
                                        ; implicit-def: $vgpr8
	s_branch .LBB21_114
.LBB21_121:                             ;   in Loop: Header=BB21_112 Depth=3
                                        ; implicit-def: $vgpr12
	s_branch .LBB21_117
.LBB21_122:                             ;   in Loop: Header=BB21_112 Depth=3
                                        ; implicit-def: $vgpr27
	s_branch .LBB21_110
.LBB21_123:                             ;   in Loop: Header=BB21_102 Depth=2
                                        ; implicit-def: $vgpr4
	s_branch .LBB21_104
.LBB21_124:                             ;   in Loop: Header=BB21_102 Depth=2
                                        ; implicit-def: $vgpr8
	s_branch .LBB21_107
.LBB21_125:                             ;   in Loop: Header=BB21_86 Depth=1
	s_or_b32 exec_lo, exec_lo, s22
	s_delay_alu instid0(SALU_CYCLE_1)
	s_and_b32 s1, s16, exec_lo
	s_and_not1_b32 s17, s17, exec_lo
.LBB21_126:                             ;   in Loop: Header=BB21_86 Depth=1
	s_or_b32 exec_lo, exec_lo, s21
	s_delay_alu instid0(SALU_CYCLE_1) | instskip(SKIP_1) | instid1(SALU_CYCLE_1)
	s_and_not1_b32 s2, s16, exec_lo
	s_and_b32 s1, s1, exec_lo
	s_or_b32 s16, s2, s1
	s_and_saveexec_b32 s1, s17
	s_cbranch_execz .LBB21_85
; %bb.127:                              ;   in Loop: Header=BB21_86 Depth=1
	v_add_nc_u32_e32 v35, 1, v21
	s_or_b32 s16, s16, exec_lo
	s_branch .LBB21_85
.LBB21_128:
	s_or_b32 exec_lo, exec_lo, s6
	s_delay_alu instid0(SALU_CYCLE_1) | instskip(SKIP_1) | instid1(SALU_CYCLE_1)
	s_and_not1_b32 s0, s3, exec_lo
	s_and_b32 s1, s11, exec_lo
	s_or_b32 s3, s0, s1
.LBB21_129:
	s_or_b32 exec_lo, exec_lo, s5
	v_add_nc_u32_e32 v15, 1, v20
	s_mov_b32 s1, exec_lo
	s_delay_alu instid0(VALU_DEP_1)
	v_cmpx_lt_i32_e64 v15, v33
	s_cbranch_execz .LBB21_153
; %bb.130:
	v_mul_lo_u32 v20, v20, s14
	s_mul_i32 s2, s14, s14
	v_cmp_gt_i32_e64 s0, s14, v19
	v_mul_lo_u32 v0, s2, v15
	s_cmp_lg_u32 s20, 0
	s_mov_b32 s5, 0
	s_cselect_b32 s6, -1, 0
	s_add_i32 s7, s14, 1
	v_mad_u64_u32 v[12:13], null, s14, v20, s[14:15]
	s_delay_alu instid0(VALU_DEP_2)
	v_add3_u32 v21, v0, s14, v19
	s_branch .LBB21_132
.LBB21_131:                             ;   in Loop: Header=BB21_132 Depth=1
	v_add_nc_u32_e32 v15, 1, v15
	v_add_nc_u32_e32 v21, s2, v21
	s_delay_alu instid0(VALU_DEP_2) | instskip(SKIP_1) | instid1(SALU_CYCLE_1)
	v_cmp_ge_i32_e32 vcc_lo, v15, v33
	s_or_b32 s5, vcc_lo, s5
	s_and_not1_b32 exec_lo, exec_lo, s5
	s_cbranch_execz .LBB21_153
.LBB21_132:                             ; =>This Loop Header: Depth=1
                                        ;     Child Loop BB21_135 Depth 2
                                        ;       Child Loop BB21_138 Depth 3
                                        ;         Child Loop BB21_142 Depth 4
	s_and_not1_b32 vcc_lo, exec_lo, s4
	s_cbranch_vccnz .LBB21_131
; %bb.133:                              ;   in Loop: Header=BB21_132 Depth=1
	v_mul_lo_u32 v22, v15, s14
	s_delay_alu instid0(VALU_DEP_3)
	v_dual_mov_b32 v23, v21 :: v_dual_mov_b32 v24, v12
	s_mov_b32 s10, 0
	s_branch .LBB21_135
.LBB21_134:                             ;   in Loop: Header=BB21_135 Depth=2
	s_or_b32 exec_lo, exec_lo, s16
	v_add_nc_u32_e32 v24, s7, v24
	v_add_nc_u32_e32 v23, s14, v23
	s_cmp_eq_u32 s11, s14
	s_mov_b32 s10, s11
	s_cbranch_scc1 .LBB21_131
.LBB21_135:                             ;   Parent Loop BB21_132 Depth=1
                                        ; =>  This Loop Header: Depth=2
                                        ;       Child Loop BB21_138 Depth 3
                                        ;         Child Loop BB21_142 Depth 4
	s_add_i32 s11, s10, 1
	s_and_saveexec_b32 s16, s0
	s_cbranch_execz .LBB21_134
; %bb.136:                              ;   in Loop: Header=BB21_135 Depth=2
	v_dual_mov_b32 v27, v23 :: v_dual_add_nc_u32 v0, s10, v20
	v_dual_mov_b32 v28, v19 :: v_dual_add_nc_u32 v1, s10, v22
	s_cmp_lt_i32 s11, s14
	s_delay_alu instid0(VALU_DEP_2) | instskip(SKIP_1) | instid1(VALU_DEP_2)
	v_mul_lo_u32 v25, v0, s14
	s_cselect_b32 s17, -1, 0
	v_mul_lo_u32 v26, v1, s14
	s_mov_b32 s20, 0
	s_branch .LBB21_138
.LBB21_137:                             ;   in Loop: Header=BB21_138 Depth=3
	v_add_nc_u32_e32 v28, 64, v28
	v_add_nc_u32_e32 v27, 64, v27
	s_delay_alu instid0(VALU_DEP_2) | instskip(SKIP_1) | instid1(SALU_CYCLE_1)
	v_cmp_le_i32_e32 vcc_lo, s14, v28
	s_or_b32 s20, vcc_lo, s20
	s_and_not1_b32 exec_lo, exec_lo, s20
	s_cbranch_execz .LBB21_134
.LBB21_138:                             ;   Parent Loop BB21_132 Depth=1
                                        ;     Parent Loop BB21_135 Depth=2
                                        ; =>    This Loop Header: Depth=3
                                        ;         Child Loop BB21_142 Depth 4
	s_and_not1_b32 vcc_lo, exec_lo, s17
	s_cbranch_vccnz .LBB21_137
; %bb.139:                              ;   in Loop: Header=BB21_138 Depth=3
	v_add_nc_u32_e32 v0, v28, v22
	s_delay_alu instid0(VALU_DEP_2) | instskip(SKIP_2) | instid1(VALU_DEP_2)
	v_add_nc_u32_e32 v31, v28, v26
	s_mov_b32 s21, 0
	s_mov_b32 s22, s11
	v_mul_lo_u32 v29, v0, s14
	s_delay_alu instid0(VALU_DEP_1)
	v_add_nc_u32_e32 v30, s10, v29
	s_branch .LBB21_142
.LBB21_140:                             ;   in Loop: Header=BB21_142 Depth=4
	v_mov_b32_e32 v13, v14
.LBB21_141:                             ;   in Loop: Header=BB21_142 Depth=4
	s_waitcnt vmcnt(0)
	v_fma_f64 v[8:9], -v[0:1], v[4:5], v[8:9]
	v_fma_f64 v[4:5], -v[2:3], v[4:5], v[10:11]
	s_delay_alu instid0(VALU_DEP_3) | instskip(SKIP_3) | instid1(VALU_DEP_3)
	v_ashrrev_i32_e32 v14, 31, v13
	s_add_i32 s22, s22, 1
	s_add_i32 s21, s21, s14
	s_cmp_ge_i32 s22, s14
	v_fma_f64 v[2:3], v[2:3], v[6:7], v[8:9]
	s_delay_alu instid0(VALU_DEP_3) | instskip(SKIP_1) | instid1(VALU_DEP_1)
	v_fma_f64 v[4:5], -v[0:1], v[6:7], v[4:5]
	v_lshlrev_b64 v[0:1], 4, v[13:14]
	v_add_co_u32 v0, vcc_lo, s8, v0
	s_delay_alu instid0(VALU_DEP_2)
	v_add_co_ci_u32_e32 v1, vcc_lo, s9, v1, vcc_lo
	global_store_b128 v[0:1], v[2:5], off
	s_cbranch_scc1 .LBB21_137
.LBB21_142:                             ;   Parent Loop BB21_132 Depth=1
                                        ;     Parent Loop BB21_135 Depth=2
                                        ;       Parent Loop BB21_138 Depth=3
                                        ; =>      This Inner Loop Header: Depth=4
	s_and_b32 vcc_lo, exec_lo, s6
	s_cbranch_vccz .LBB21_150
; %bb.143:                              ;   in Loop: Header=BB21_142 Depth=4
	v_add_nc_u32_e32 v0, s22, v25
	v_mov_b32_e32 v2, v30
	s_cbranch_execnz .LBB21_145
.LBB21_144:                             ;   in Loop: Header=BB21_142 Depth=4
	v_add_nc_u32_e32 v0, s21, v24
	v_mov_b32_e32 v2, v31
.LBB21_145:                             ;   in Loop: Header=BB21_142 Depth=4
	s_delay_alu instid0(VALU_DEP_2) | instskip(NEXT) | instid1(VALU_DEP_2)
	v_ashrrev_i32_e32 v1, 31, v0
	v_ashrrev_i32_e32 v3, 31, v2
	v_add_nc_u32_e32 v13, s22, v29
	s_delay_alu instid0(VALU_DEP_3) | instskip(NEXT) | instid1(VALU_DEP_3)
	v_lshlrev_b64 v[0:1], 4, v[0:1]
	v_lshlrev_b64 v[2:3], 4, v[2:3]
	s_delay_alu instid0(VALU_DEP_2) | instskip(NEXT) | instid1(VALU_DEP_3)
	v_add_co_u32 v0, vcc_lo, s8, v0
	v_add_co_ci_u32_e32 v1, vcc_lo, s9, v1, vcc_lo
	s_delay_alu instid0(VALU_DEP_3) | instskip(NEXT) | instid1(VALU_DEP_4)
	v_add_co_u32 v4, vcc_lo, s8, v2
	v_add_co_ci_u32_e32 v5, vcc_lo, s9, v3, vcc_lo
	s_and_b32 vcc_lo, exec_lo, s6
	s_clause 0x1
	global_load_b128 v[0:3], v[0:1], off
	global_load_b128 v[4:7], v[4:5], off
	s_cbranch_vccz .LBB21_151
; %bb.146:                              ;   in Loop: Header=BB21_142 Depth=4
	v_add_nc_u32_e32 v8, s22, v29
	v_add_nc_u32_e32 v14, s21, v27
	s_cbranch_execnz .LBB21_148
.LBB21_147:                             ;   in Loop: Header=BB21_142 Depth=4
	v_add_nc_u32_e32 v8, s21, v27
.LBB21_148:                             ;   in Loop: Header=BB21_142 Depth=4
	s_delay_alu instid0(VALU_DEP_1) | instskip(NEXT) | instid1(VALU_DEP_1)
	v_ashrrev_i32_e32 v9, 31, v8
	v_lshlrev_b64 v[8:9], 4, v[8:9]
	s_delay_alu instid0(VALU_DEP_1) | instskip(NEXT) | instid1(VALU_DEP_2)
	v_add_co_u32 v8, vcc_lo, s8, v8
	v_add_co_ci_u32_e32 v9, vcc_lo, s9, v9, vcc_lo
	s_and_b32 vcc_lo, exec_lo, s6
	global_load_b128 v[8:11], v[8:9], off
	s_cbranch_vccz .LBB21_152
; %bb.149:                              ;   in Loop: Header=BB21_142 Depth=4
	s_cbranch_execnz .LBB21_141
	s_branch .LBB21_140
.LBB21_150:                             ;   in Loop: Header=BB21_142 Depth=4
                                        ; implicit-def: $vgpr0
	s_delay_alu instid0(VALU_DEP_1)
	v_mov_b32_e32 v2, v30
	s_branch .LBB21_144
.LBB21_151:                             ;   in Loop: Header=BB21_142 Depth=4
                                        ; implicit-def: $vgpr8
	v_add_nc_u32_e32 v14, s21, v27
	s_branch .LBB21_147
.LBB21_152:                             ;   in Loop: Header=BB21_142 Depth=4
                                        ; implicit-def: $vgpr13
	s_branch .LBB21_140
.LBB21_153:
	s_or_b32 exec_lo, exec_lo, s1
	s_delay_alu instid0(SALU_CYCLE_1)
	s_or_not1_b32 s0, s3, exec_lo
.LBB21_154:
	s_or_b32 exec_lo, exec_lo, s15
	v_cmp_eq_u32_e32 vcc_lo, 0, v19
	s_and_b32 exec_lo, exec_lo, vcc_lo
	s_cbranch_execz .LBB21_160
; %bb.155:
	v_add_co_u32 v0, vcc_lo, s12, v17
	v_add_co_ci_u32_e32 v1, vcc_lo, s13, v18, vcc_lo
	v_mov_b32_e32 v2, 1
	s_waitcnt_vscnt null, 0x0
	global_store_b32 v[0:1], v2, off
	s_and_b32 exec_lo, exec_lo, s0
	s_cbranch_execz .LBB21_160
; %bb.156:
	v_add_nc_u32_e32 v0, s24, v16
	s_mov_b32 s1, exec_lo
	s_brev_b32 s0, -2
.LBB21_157:                             ; =>This Inner Loop Header: Depth=1
	s_ctz_i32_b32 s2, s1
	s_delay_alu instid0(VALU_DEP_1) | instid1(SALU_CYCLE_1)
	v_readlane_b32 s3, v0, s2
	s_lshl_b32 s2, 1, s2
	s_delay_alu instid0(SALU_CYCLE_1) | instskip(NEXT) | instid1(VALU_DEP_1)
	s_and_not1_b32 s1, s1, s2
	s_min_i32 s0, s0, s3
	s_cmp_lg_u32 s1, 0
	s_cbranch_scc1 .LBB21_157
; %bb.158:
	v_mbcnt_lo_u32_b32 v0, exec_lo, 0
	s_mov_b32 s1, exec_lo
	s_delay_alu instid0(VALU_DEP_1)
	v_cmpx_eq_u32_e32 0, v0
	s_xor_b32 s1, exec_lo, s1
	s_cbranch_execz .LBB21_160
; %bb.159:
	v_dual_mov_b32 v0, 0 :: v_dual_mov_b32 v1, s0
	global_atomic_min_i32 v0, v1, s[18:19]
.LBB21_160:
	s_endpgm
	.section	.rodata,"a",@progbits
	.p2align	6, 0x0
	.amdhsa_kernel _ZN9rocsparseL15bsrilu0_generalILj128ELj64ELb1E21rocsparse_complex_numIdEEEv20rocsparse_direction_iPKiS5_PT2_S5_iPiS5_S8_21rocsparse_index_base_imNS_24const_host_device_scalarIfEENSA_IdEENSA_IS6_EEb
		.amdhsa_group_segment_fixed_size 1024
		.amdhsa_private_segment_fixed_size 40
		.amdhsa_kernarg_size 124
		.amdhsa_user_sgpr_count 15
		.amdhsa_user_sgpr_dispatch_ptr 1
		.amdhsa_user_sgpr_queue_ptr 0
		.amdhsa_user_sgpr_kernarg_segment_ptr 1
		.amdhsa_user_sgpr_dispatch_id 0
		.amdhsa_user_sgpr_private_segment_size 0
		.amdhsa_wavefront_size32 1
		.amdhsa_uses_dynamic_stack 0
		.amdhsa_enable_private_segment 1
		.amdhsa_system_sgpr_workgroup_id_x 1
		.amdhsa_system_sgpr_workgroup_id_y 0
		.amdhsa_system_sgpr_workgroup_id_z 0
		.amdhsa_system_sgpr_workgroup_info 0
		.amdhsa_system_vgpr_workitem_id 2
		.amdhsa_next_free_vgpr 48
		.amdhsa_next_free_sgpr 43
		.amdhsa_reserve_vcc 1
		.amdhsa_float_round_mode_32 0
		.amdhsa_float_round_mode_16_64 0
		.amdhsa_float_denorm_mode_32 3
		.amdhsa_float_denorm_mode_16_64 3
		.amdhsa_dx10_clamp 1
		.amdhsa_ieee_mode 1
		.amdhsa_fp16_overflow 0
		.amdhsa_workgroup_processor_mode 1
		.amdhsa_memory_ordered 1
		.amdhsa_forward_progress 0
		.amdhsa_shared_vgpr_count 0
		.amdhsa_exception_fp_ieee_invalid_op 0
		.amdhsa_exception_fp_denorm_src 0
		.amdhsa_exception_fp_ieee_div_zero 0
		.amdhsa_exception_fp_ieee_overflow 0
		.amdhsa_exception_fp_ieee_underflow 0
		.amdhsa_exception_fp_ieee_inexact 0
		.amdhsa_exception_int_div_zero 0
	.end_amdhsa_kernel
	.section	.text._ZN9rocsparseL15bsrilu0_generalILj128ELj64ELb1E21rocsparse_complex_numIdEEEv20rocsparse_direction_iPKiS5_PT2_S5_iPiS5_S8_21rocsparse_index_base_imNS_24const_host_device_scalarIfEENSA_IdEENSA_IS6_EEb,"axG",@progbits,_ZN9rocsparseL15bsrilu0_generalILj128ELj64ELb1E21rocsparse_complex_numIdEEEv20rocsparse_direction_iPKiS5_PT2_S5_iPiS5_S8_21rocsparse_index_base_imNS_24const_host_device_scalarIfEENSA_IdEENSA_IS6_EEb,comdat
.Lfunc_end21:
	.size	_ZN9rocsparseL15bsrilu0_generalILj128ELj64ELb1E21rocsparse_complex_numIdEEEv20rocsparse_direction_iPKiS5_PT2_S5_iPiS5_S8_21rocsparse_index_base_imNS_24const_host_device_scalarIfEENSA_IdEENSA_IS6_EEb, .Lfunc_end21-_ZN9rocsparseL15bsrilu0_generalILj128ELj64ELb1E21rocsparse_complex_numIdEEEv20rocsparse_direction_iPKiS5_PT2_S5_iPiS5_S8_21rocsparse_index_base_imNS_24const_host_device_scalarIfEENSA_IdEENSA_IS6_EEb
                                        ; -- End function
	.section	.AMDGPU.csdata,"",@progbits
; Kernel info:
; codeLenInByte = 5572
; NumSgprs: 45
; NumVgprs: 48
; ScratchSize: 40
; MemoryBound: 0
; FloatMode: 240
; IeeeMode: 1
; LDSByteSize: 1024 bytes/workgroup (compile time only)
; SGPRBlocks: 5
; VGPRBlocks: 5
; NumSGPRsForWavesPerEU: 45
; NumVGPRsForWavesPerEU: 48
; Occupancy: 16
; WaveLimiterHint : 1
; COMPUTE_PGM_RSRC2:SCRATCH_EN: 1
; COMPUTE_PGM_RSRC2:USER_SGPR: 15
; COMPUTE_PGM_RSRC2:TRAP_HANDLER: 0
; COMPUTE_PGM_RSRC2:TGID_X_EN: 1
; COMPUTE_PGM_RSRC2:TGID_Y_EN: 0
; COMPUTE_PGM_RSRC2:TGID_Z_EN: 0
; COMPUTE_PGM_RSRC2:TIDIG_COMP_CNT: 2
	.section	.text._ZN9rocsparseL15bsrilu0_generalILj128ELj32ELb0E21rocsparse_complex_numIdEEEv20rocsparse_direction_iPKiS5_PT2_S5_iPiS5_S8_21rocsparse_index_base_imNS_24const_host_device_scalarIfEENSA_IdEENSA_IS6_EEb,"axG",@progbits,_ZN9rocsparseL15bsrilu0_generalILj128ELj32ELb0E21rocsparse_complex_numIdEEEv20rocsparse_direction_iPKiS5_PT2_S5_iPiS5_S8_21rocsparse_index_base_imNS_24const_host_device_scalarIfEENSA_IdEENSA_IS6_EEb,comdat
	.globl	_ZN9rocsparseL15bsrilu0_generalILj128ELj32ELb0E21rocsparse_complex_numIdEEEv20rocsparse_direction_iPKiS5_PT2_S5_iPiS5_S8_21rocsparse_index_base_imNS_24const_host_device_scalarIfEENSA_IdEENSA_IS6_EEb ; -- Begin function _ZN9rocsparseL15bsrilu0_generalILj128ELj32ELb0E21rocsparse_complex_numIdEEEv20rocsparse_direction_iPKiS5_PT2_S5_iPiS5_S8_21rocsparse_index_base_imNS_24const_host_device_scalarIfEENSA_IdEENSA_IS6_EEb
	.p2align	8
	.type	_ZN9rocsparseL15bsrilu0_generalILj128ELj32ELb0E21rocsparse_complex_numIdEEEv20rocsparse_direction_iPKiS5_PT2_S5_iPiS5_S8_21rocsparse_index_base_imNS_24const_host_device_scalarIfEENSA_IdEENSA_IS6_EEb,@function
_ZN9rocsparseL15bsrilu0_generalILj128ELj32ELb0E21rocsparse_complex_numIdEEEv20rocsparse_direction_iPKiS5_PT2_S5_iPiS5_S8_21rocsparse_index_base_imNS_24const_host_device_scalarIfEENSA_IdEENSA_IS6_EEb: ; @_ZN9rocsparseL15bsrilu0_generalILj128ELj32ELb0E21rocsparse_complex_numIdEEEv20rocsparse_direction_iPKiS5_PT2_S5_iPiS5_S8_21rocsparse_index_base_imNS_24const_host_device_scalarIfEENSA_IdEENSA_IS6_EEb
; %bb.0:
	s_load_b32 s8, s[2:3], 0x78
	s_load_b64 s[6:7], s[0:1], 0x4
	s_clause 0x1
	s_load_b64 s[24:25], s[2:3], 0x48
	s_load_b256 s[16:23], s[2:3], 0x50
	v_bfe_u32 v1, v0, 10, 10
	s_load_b64 s[4:5], s[2:3], 0x70
	v_and_b32_e32 v4, 0x3ff, v0
	v_bfe_u32 v2, v0, 20, 10
	s_waitcnt lgkmcnt(0)
	s_bitcmp1_b32 s8, 0
	v_mul_u32_u24_e32 v0, s7, v1
	s_cselect_b32 s0, -1, 0
	s_lshr_b32 s1, s6, 16
	s_cmp_lg_u32 s25, 0
	s_mul_i32 s6, s1, s7
	s_cselect_b32 s1, -1, 0
	v_mad_u32_u24 v3, s6, v4, v0
	s_cmp_eq_u32 s25, 0
	v_dual_mov_b32 v0, s22 :: v_dual_mov_b32 v1, s23
	s_cselect_b32 s9, -1, 0
	s_delay_alu instid0(VALU_DEP_2)
	v_add_lshl_u32 v5, v3, v2, 3
	s_and_b32 s6, s9, exec_lo
	s_cselect_b32 s6, 0, s20
	s_cselect_b32 s7, 0, s21
	s_or_b32 s10, s9, s0
	ds_store_b64 v5, v[0:1]
	s_xor_b32 s8, s10, -1
	s_and_b32 vcc_lo, exec_lo, s10
	s_cbranch_vccnz .LBB22_2
; %bb.1:
	s_load_b32 s6, s[18:19], 0x0
	s_waitcnt lgkmcnt(0)
	v_mov_b32_e32 v35, s6
	s_mov_b64 s[6:7], s[20:21]
	s_delay_alu instid0(SALU_CYCLE_1)
	v_dual_mov_b32 v23, s7 :: v_dual_mov_b32 v22, s6
	s_and_not1_b32 vcc_lo, exec_lo, s8
	s_cbranch_vccz .LBB22_3
	s_branch .LBB22_4
.LBB22_2:
	v_cndmask_b32_e64 v35, s18, 0, s9
	v_dual_mov_b32 v23, s7 :: v_dual_mov_b32 v22, s6
	s_and_not1_b32 vcc_lo, exec_lo, s8
	s_cbranch_vccnz .LBB22_4
.LBB22_3:
	v_dual_mov_b32 v0, s20 :: v_dual_mov_b32 v1, s21
	flat_load_b64 v[22:23], v[0:1]
.LBB22_4:
	v_mov_b32_e32 v0, 0
	v_mov_b32_e32 v1, 0
	v_cndmask_b32_e64 v34, 0, 1, s1
	s_and_not1_b32 vcc_lo, exec_lo, s1
	s_delay_alu instid0(VALU_DEP_2)
	v_dual_mov_b32 v3, v1 :: v_dual_mov_b32 v2, v0
	s_cbranch_vccnz .LBB22_7
; %bb.5:
	s_mov_b64 s[6:7], src_shared_base
	s_xor_b32 s1, s0, -1
	s_and_b32 s6, s0, exec_lo
	s_cselect_b32 s6, s7, s23
	v_cndmask_b32_e64 v0, s22, v5, s0
	v_dual_mov_b32 v1, s6 :: v_dual_mov_b32 v2, s4
	v_mov_b32_e32 v3, s5
	s_and_not1_b32 vcc_lo, exec_lo, s1
	flat_load_b64 v[0:1], v[0:1]
	s_cbranch_vccnz .LBB22_7
; %bb.6:
	v_dual_mov_b32 v2, s22 :: v_dual_mov_b32 v3, s23
	flat_load_b64 v[2:3], v[2:3] offset:8
.LBB22_7:
	s_load_b64 s[20:21], s[2:3], 0x0
	v_lshrrev_b32_e32 v5, 5, v4
	s_lshl_b32 s0, s15, 2
	s_waitcnt vmcnt(0) lgkmcnt(0)
	scratch_store_b128 off, v[0:3], off
	v_and_or_b32 v5, 0x7fffffc, s0, v5
	s_mov_b32 s0, exec_lo
	s_delay_alu instid0(VALU_DEP_1)
	v_cmpx_gt_i32_e64 s21, v5
	s_cbranch_execz .LBB22_158
; %bb.8:
	s_clause 0x1
	s_load_b128 s[12:15], s[2:3], 0x30
	s_load_b64 s[18:19], s[2:3], 0x40
	v_lshlrev_b32_e32 v0, 2, v5
	s_load_b256 s[4:11], s[2:3], 0x8
	v_and_b32_e32 v19, 31, v4
	s_mov_b32 s0, -1
	s_waitcnt lgkmcnt(0)
	global_load_b32 v16, v0, s[14:15]
	s_mov_b32 s15, exec_lo
	s_waitcnt vmcnt(0)
	v_ashrrev_i32_e32 v17, 31, v16
	s_delay_alu instid0(VALU_DEP_1) | instskip(NEXT) | instid1(VALU_DEP_1)
	v_lshlrev_b64 v[17:18], 2, v[16:17]
	v_add_co_u32 v0, vcc_lo, s10, v17
	s_delay_alu instid0(VALU_DEP_2)
	v_add_co_ci_u32_e32 v1, vcc_lo, s11, v18, vcc_lo
	global_load_b32 v20, v[0:1], off
	s_waitcnt vmcnt(0)
	v_cmpx_ne_u32_e32 -1, v20
	s_cbranch_execz .LBB22_152
; %bb.9:
	v_add_co_u32 v0, vcc_lo, s4, v17
	v_add_co_ci_u32_e32 v1, vcc_lo, s5, v18, vcc_lo
	s_load_b32 s14, s[2:3], 0x28
	s_mov_b32 s3, 0
	s_mov_b32 s22, exec_lo
	global_load_b64 v[0:1], v[0:1], off
	s_waitcnt vmcnt(0)
	v_subrev_nc_u32_e32 v24, s24, v0
	v_subrev_nc_u32_e32 v33, s24, v1
	s_delay_alu instid0(VALU_DEP_2)
	v_cmpx_lt_i32_e64 v24, v20
	s_cbranch_execz .LBB22_81
; %bb.10:
	v_add_nc_u32_e32 v26, v24, v19
	s_waitcnt lgkmcnt(0)
	v_mad_u64_u32 v[2:3], null, s14, v24, v[19:20]
	s_cmp_gt_i32 s14, 0
	v_cmp_gt_i32_e64 s0, s14, v19
	v_ashrrev_i32_e32 v27, 31, v26
	s_cselect_b32 s23, -1, 0
	s_cmp_lg_u32 s20, 0
	v_cmp_le_i32_e64 s1, s14, v19
	s_delay_alu instid0(VALU_DEP_4)
	v_mul_lo_u32 v36, s14, v2
	v_lshlrev_b64 v[0:1], 2, v[26:27]
	s_cselect_b32 s26, -1, 0
	s_add_i32 s21, s21, 1
	v_cmp_lt_i32_e64 s2, v26, v33
	s_add_u32 s27, s4, 4
	s_addc_u32 s28, s5, 0
	v_add_co_u32 v27, vcc_lo, s6, v0
	v_add_co_ci_u32_e32 v28, vcc_lo, s7, v1, vcc_lo
	s_add_u32 s29, s6, 0x80
	s_mov_b32 s25, 0
	s_addc_u32 s30, s7, 0
	s_mul_i32 s31, s14, s14
	s_lshl_b32 s33, s14, 5
	s_mov_b32 s34, 0
                                        ; implicit-def: $sgpr35
                                        ; implicit-def: $sgpr36
	s_branch .LBB22_13
.LBB22_11:                              ;   in Loop: Header=BB22_13 Depth=1
	s_or_b32 exec_lo, exec_lo, s4
	s_delay_alu instid0(SALU_CYCLE_1) | instskip(SKIP_1) | instid1(SALU_CYCLE_1)
	s_and_not1_b32 s4, s36, exec_lo
	s_and_b32 s5, s25, exec_lo
	s_or_b32 s36, s4, s5
.LBB22_12:                              ;   in Loop: Header=BB22_13 Depth=1
	s_or_b32 exec_lo, exec_lo, s37
	v_add_nc_u32_e32 v24, 1, v24
	s_xor_b32 s3, s3, -1
	v_add_nc_u32_e32 v36, s31, v36
	s_mov_b32 s25, s36
	s_delay_alu instid0(VALU_DEP_2) | instskip(SKIP_1) | instid1(SALU_CYCLE_1)
	v_cmp_ge_i32_e32 vcc_lo, v24, v20
	s_or_b32 s3, s3, vcc_lo
	s_and_b32 s3, exec_lo, s3
	s_delay_alu instid0(SALU_CYCLE_1) | instskip(SKIP_2) | instid1(SALU_CYCLE_1)
	s_or_b32 s34, s3, s34
	s_and_not1_b32 s3, s35, exec_lo
	s_and_b32 s4, s36, exec_lo
	s_or_b32 s35, s3, s4
	s_and_not1_b32 exec_lo, exec_lo, s34
	s_cbranch_execz .LBB22_80
.LBB22_13:                              ; =>This Loop Header: Depth=1
                                        ;     Child Loop BB22_16 Depth 2
                                        ;     Child Loop BB22_21 Depth 2
                                        ;       Child Loop BB22_26 Depth 3
                                        ;         Child Loop BB22_36 Depth 4
                                        ;     Child Loop BB22_54 Depth 2
                                        ;       Child Loop BB22_59 Depth 3
                                        ;       Child Loop BB22_66 Depth 3
                                        ;         Child Loop BB22_69 Depth 4
                                        ;           Child Loop BB22_71 Depth 5
	v_ashrrev_i32_e32 v25, 31, v24
	s_or_b32 s36, s36, exec_lo
	s_waitcnt lgkmcnt(0)
	s_delay_alu instid0(VALU_DEP_1) | instskip(NEXT) | instid1(VALU_DEP_1)
	v_lshlrev_b64 v[0:1], 2, v[24:25]
	v_add_co_u32 v0, vcc_lo, s6, v0
	s_delay_alu instid0(VALU_DEP_2) | instskip(SKIP_3) | instid1(VALU_DEP_1)
	v_add_co_ci_u32_e32 v1, vcc_lo, s7, v1, vcc_lo
	global_load_b32 v0, v[0:1], off
	s_waitcnt vmcnt(0)
	v_subrev_nc_u32_e32 v0, s24, v0
	v_ashrrev_i32_e32 v1, 31, v0
	s_delay_alu instid0(VALU_DEP_1) | instskip(NEXT) | instid1(VALU_DEP_1)
	v_lshlrev_b64 v[0:1], 2, v[0:1]
	v_add_co_u32 v2, vcc_lo, s10, v0
	s_delay_alu instid0(VALU_DEP_2) | instskip(SKIP_3) | instid1(VALU_DEP_1)
	v_add_co_ci_u32_e32 v3, vcc_lo, s11, v1, vcc_lo
	global_load_b32 v38, v[2:3], off
	s_waitcnt vmcnt(0)
	v_cmp_ne_u32_e64 s3, -1, v38
	s_and_saveexec_b32 s37, s3
	s_cbranch_execz .LBB22_12
; %bb.14:                               ;   in Loop: Header=BB22_13 Depth=1
	v_add_co_u32 v2, vcc_lo, s27, v0
	v_add_co_ci_u32_e32 v3, vcc_lo, s28, v1, vcc_lo
	v_add_co_u32 v0, vcc_lo, s12, v0
	v_add_co_ci_u32_e32 v1, vcc_lo, s13, v1, vcc_lo
	s_mov_b32 s4, exec_lo
	global_load_b32 v39, v[2:3], off
	global_load_b32 v2, v[0:1], off glc
	s_waitcnt vmcnt(0)
	v_cmpx_eq_u32_e32 0, v2
	s_cbranch_execz .LBB22_17
; %bb.15:                               ;   in Loop: Header=BB22_13 Depth=1
	s_mov_b32 s5, 0
.LBB22_16:                              ;   Parent Loop BB22_13 Depth=1
                                        ; =>  This Inner Loop Header: Depth=2
	global_load_b32 v2, v[0:1], off glc
	s_waitcnt vmcnt(0)
	v_cmp_ne_u32_e32 vcc_lo, 0, v2
	s_or_b32 s5, vcc_lo, s5
	s_delay_alu instid0(SALU_CYCLE_1)
	s_and_not1_b32 exec_lo, exec_lo, s5
	s_cbranch_execnz .LBB22_16
.LBB22_17:                              ;   in Loop: Header=BB22_13 Depth=1
	s_or_b32 exec_lo, exec_lo, s4
	v_mul_lo_u32 v37, v24, s14
	s_and_not1_b32 vcc_lo, exec_lo, s23
	s_waitcnt_vscnt null, 0x0
	buffer_gl1_inv
	buffer_gl0_inv
	s_cbranch_vccnz .LBB22_50
; %bb.18:                               ;   in Loop: Header=BB22_13 Depth=1
	v_mul_lo_u32 v40, v38, s14
	v_mov_b32_e32 v21, 0
	s_mov_b32 s38, 0
	s_branch .LBB22_21
.LBB22_19:                              ;   in Loop: Header=BB22_21 Depth=2
	s_or_b32 exec_lo, exec_lo, s40
	v_mov_b32_e32 v21, v41
.LBB22_20:                              ;   in Loop: Header=BB22_21 Depth=2
	s_or_b32 exec_lo, exec_lo, s39
	s_delay_alu instid0(VALU_DEP_1) | instskip(SKIP_1) | instid1(SALU_CYCLE_1)
	v_cmp_eq_u32_e32 vcc_lo, s14, v21
	s_or_b32 s38, vcc_lo, s38
	s_and_not1_b32 exec_lo, exec_lo, s38
	s_cbranch_execz .LBB22_49
.LBB22_21:                              ;   Parent Loop BB22_13 Depth=1
                                        ; =>  This Loop Header: Depth=2
                                        ;       Child Loop BB22_26 Depth 3
                                        ;         Child Loop BB22_36 Depth 4
	s_delay_alu instid0(VALU_DEP_1) | instskip(SKIP_1) | instid1(SALU_CYCLE_1)
	v_add_nc_u32_e32 v41, 1, v21
	s_and_saveexec_b32 s4, s1
	s_xor_b32 s4, exec_lo, s4
; %bb.22:                               ;   in Loop: Header=BB22_21 Depth=2
	v_add_nc_u32_e32 v21, 1, v21
                                        ; implicit-def: $vgpr41
; %bb.23:                               ;   in Loop: Header=BB22_21 Depth=2
	s_and_not1_saveexec_b32 s39, s4
	s_cbranch_execz .LBB22_20
; %bb.24:                               ;   in Loop: Header=BB22_21 Depth=2
	s_delay_alu instid0(VALU_DEP_1) | instskip(SKIP_3) | instid1(VALU_DEP_3)
	v_dual_mov_b32 v25, v19 :: v_dual_add_nc_u32 v0, v21, v40
	v_cmp_gt_i32_e64 s4, s14, v41
	v_mov_b32_e32 v44, v36
	s_mov_b32 s40, 0
	v_mul_lo_u32 v42, v0, s14
	s_delay_alu instid0(VALU_DEP_1) | instskip(NEXT) | instid1(VALU_DEP_1)
	v_add_nc_u32_e32 v0, v42, v21
	v_ashrrev_i32_e32 v1, 31, v0
	s_delay_alu instid0(VALU_DEP_1) | instskip(NEXT) | instid1(VALU_DEP_1)
	v_lshlrev_b64 v[0:1], 4, v[0:1]
	v_add_co_u32 v0, vcc_lo, s8, v0
	s_delay_alu instid0(VALU_DEP_2) | instskip(SKIP_3) | instid1(VALU_DEP_1)
	v_add_co_ci_u32_e32 v1, vcc_lo, s9, v1, vcc_lo
	global_load_b128 v[0:3], v[0:1], off
	s_waitcnt vmcnt(0)
	v_mul_f64 v[4:5], v[2:3], v[2:3]
	v_fma_f64 v[4:5], v[0:1], v[0:1], v[4:5]
	s_delay_alu instid0(VALU_DEP_1) | instskip(NEXT) | instid1(VALU_DEP_1)
	v_div_scale_f64 v[6:7], null, v[4:5], v[4:5], 1.0
	v_rcp_f64_e32 v[8:9], v[6:7]
	s_waitcnt_depctr 0xfff
	v_fma_f64 v[10:11], -v[6:7], v[8:9], 1.0
	s_delay_alu instid0(VALU_DEP_1) | instskip(NEXT) | instid1(VALU_DEP_1)
	v_fma_f64 v[8:9], v[8:9], v[10:11], v[8:9]
	v_fma_f64 v[10:11], -v[6:7], v[8:9], 1.0
	s_delay_alu instid0(VALU_DEP_1) | instskip(SKIP_1) | instid1(VALU_DEP_1)
	v_fma_f64 v[8:9], v[8:9], v[10:11], v[8:9]
	v_div_scale_f64 v[10:11], vcc_lo, 1.0, v[4:5], 1.0
	v_mul_f64 v[12:13], v[10:11], v[8:9]
	s_delay_alu instid0(VALU_DEP_1) | instskip(NEXT) | instid1(VALU_DEP_1)
	v_fma_f64 v[6:7], -v[6:7], v[12:13], v[10:11]
	v_div_fmas_f64 v[6:7], v[6:7], v[8:9], v[12:13]
	s_delay_alu instid0(VALU_DEP_1) | instskip(SKIP_1) | instid1(VALU_DEP_1)
	v_div_fixup_f64 v[29:30], v[6:7], v[4:5], 1.0
	v_add_nc_u32_e32 v4, v21, v37
	v_mul_lo_u32 v43, v4, s14
	s_branch .LBB22_26
.LBB22_25:                              ;   in Loop: Header=BB22_26 Depth=3
	s_or_b32 exec_lo, exec_lo, s41
	v_add_nc_u32_e32 v25, 32, v25
	v_add_nc_u32_e32 v44, s33, v44
	s_delay_alu instid0(VALU_DEP_2) | instskip(SKIP_1) | instid1(SALU_CYCLE_1)
	v_cmp_le_i32_e32 vcc_lo, s14, v25
	s_or_b32 s40, vcc_lo, s40
	s_and_not1_b32 exec_lo, exec_lo, s40
	s_cbranch_execz .LBB22_19
.LBB22_26:                              ;   Parent Loop BB22_13 Depth=1
                                        ;     Parent Loop BB22_21 Depth=2
                                        ; =>    This Loop Header: Depth=3
                                        ;         Child Loop BB22_36 Depth 4
	s_delay_alu instid0(VALU_DEP_1)
	v_add_nc_u32_e32 v8, v25, v43
	s_and_b32 vcc_lo, exec_lo, s26
	s_cbranch_vccz .LBB22_47
; %bb.27:                               ;   in Loop: Header=BB22_26 Depth=3
	v_add_nc_u32_e32 v4, v25, v43
	v_add_nc_u32_e32 v10, v25, v37
	s_cbranch_execnz .LBB22_29
.LBB22_28:                              ;   in Loop: Header=BB22_26 Depth=3
	s_delay_alu instid0(VALU_DEP_1)
	v_mad_u64_u32 v[4:5], null, v10, s14, v[21:22]
.LBB22_29:                              ;   in Loop: Header=BB22_26 Depth=3
	s_delay_alu instid0(VALU_DEP_1) | instskip(NEXT) | instid1(VALU_DEP_1)
	v_ashrrev_i32_e32 v5, 31, v4
	v_lshlrev_b64 v[4:5], 4, v[4:5]
	s_delay_alu instid0(VALU_DEP_1) | instskip(NEXT) | instid1(VALU_DEP_2)
	v_add_co_u32 v4, vcc_lo, s8, v4
	v_add_co_ci_u32_e32 v5, vcc_lo, s9, v5, vcc_lo
	s_and_b32 vcc_lo, exec_lo, s26
	global_load_b128 v[4:7], v[4:5], off
	s_cbranch_vccz .LBB22_48
; %bb.30:                               ;   in Loop: Header=BB22_26 Depth=3
	s_cbranch_execnz .LBB22_32
.LBB22_31:                              ;   in Loop: Header=BB22_26 Depth=3
	v_mad_u64_u32 v[8:9], null, v10, s14, v[21:22]
.LBB22_32:                              ;   in Loop: Header=BB22_26 Depth=3
	s_waitcnt vmcnt(0)
	v_mul_f64 v[9:10], v[2:3], v[6:7]
	v_mul_f64 v[11:12], v[2:3], -v[4:5]
	s_delay_alu instid0(VALU_DEP_2) | instskip(NEXT) | instid1(VALU_DEP_2)
	v_fma_f64 v[4:5], v[4:5], v[0:1], v[9:10]
	v_fma_f64 v[6:7], v[6:7], v[0:1], v[11:12]
	v_ashrrev_i32_e32 v9, 31, v8
	s_delay_alu instid0(VALU_DEP_1) | instskip(NEXT) | instid1(VALU_DEP_1)
	v_lshlrev_b64 v[8:9], 4, v[8:9]
	v_add_co_u32 v8, vcc_lo, s8, v8
	s_delay_alu instid0(VALU_DEP_2)
	v_add_co_ci_u32_e32 v9, vcc_lo, s9, v9, vcc_lo
	v_mul_f64 v[4:5], v[29:30], v[4:5]
	v_mul_f64 v[6:7], v[29:30], v[6:7]
	global_store_b128 v[8:9], v[4:7], off
	s_and_saveexec_b32 s41, s4
	s_cbranch_execz .LBB22_25
; %bb.33:                               ;   in Loop: Header=BB22_26 Depth=3
	v_mov_b32_e32 v45, v41
	s_mov_b32 s42, 0
	s_branch .LBB22_36
.LBB22_34:                              ;   in Loop: Header=BB22_36 Depth=4
	v_mov_b32_e32 v31, v47
.LBB22_35:                              ;   in Loop: Header=BB22_36 Depth=4
	s_waitcnt vmcnt(0)
	v_fma_f64 v[12:13], -v[4:5], v[8:9], v[12:13]
	v_fma_f64 v[14:15], -v[6:7], v[8:9], v[14:15]
	s_delay_alu instid0(VALU_DEP_3) | instskip(SKIP_1) | instid1(VALU_DEP_1)
	v_ashrrev_i32_e32 v32, 31, v31
	v_add_nc_u32_e32 v45, 1, v45
	v_cmp_le_i32_e32 vcc_lo, s14, v45
	s_or_b32 s42, vcc_lo, s42
	v_fma_f64 v[8:9], v[6:7], v[10:11], v[12:13]
	v_fma_f64 v[10:11], -v[4:5], v[10:11], v[14:15]
	v_lshlrev_b64 v[12:13], 4, v[31:32]
	s_delay_alu instid0(VALU_DEP_1) | instskip(NEXT) | instid1(VALU_DEP_1)
	v_add_co_u32 v12, s5, s8, v12
	v_add_co_ci_u32_e64 v13, s5, s9, v13, s5
	global_store_b128 v[12:13], v[8:11], off
	s_and_not1_b32 exec_lo, exec_lo, s42
	s_cbranch_execz .LBB22_25
.LBB22_36:                              ;   Parent Loop BB22_13 Depth=1
                                        ;     Parent Loop BB22_21 Depth=2
                                        ;       Parent Loop BB22_26 Depth=3
                                        ; =>      This Inner Loop Header: Depth=4
	s_and_b32 vcc_lo, exec_lo, s26
	s_cbranch_vccz .LBB22_44
; %bb.37:                               ;   in Loop: Header=BB22_36 Depth=4
	v_add_nc_u32_e32 v10, v45, v40
	s_delay_alu instid0(VALU_DEP_1)
	v_mad_u64_u32 v[8:9], null, v10, s14, v[21:22]
	s_cbranch_execnz .LBB22_39
.LBB22_38:                              ;   in Loop: Header=BB22_36 Depth=4
	v_add_nc_u32_e32 v8, v42, v45
.LBB22_39:                              ;   in Loop: Header=BB22_36 Depth=4
	s_delay_alu instid0(VALU_DEP_1) | instskip(SKIP_1) | instid1(VALU_DEP_2)
	v_ashrrev_i32_e32 v9, 31, v8
	v_add_nc_u32_e32 v46, v45, v37
	v_lshlrev_b64 v[8:9], 4, v[8:9]
	s_delay_alu instid0(VALU_DEP_1) | instskip(NEXT) | instid1(VALU_DEP_2)
	v_add_co_u32 v8, vcc_lo, s8, v8
	v_add_co_ci_u32_e32 v9, vcc_lo, s9, v9, vcc_lo
	s_and_b32 vcc_lo, exec_lo, s26
	global_load_b128 v[8:11], v[8:9], off
	s_cbranch_vccz .LBB22_45
; %bb.40:                               ;   in Loop: Header=BB22_36 Depth=4
	v_mad_u64_u32 v[12:13], null, v46, s14, v[25:26]
	v_add_nc_u32_e32 v47, v44, v45
	s_cbranch_execnz .LBB22_42
.LBB22_41:                              ;   in Loop: Header=BB22_36 Depth=4
	v_add_nc_u32_e32 v12, v44, v45
.LBB22_42:                              ;   in Loop: Header=BB22_36 Depth=4
	s_delay_alu instid0(VALU_DEP_1) | instskip(NEXT) | instid1(VALU_DEP_1)
	v_ashrrev_i32_e32 v13, 31, v12
	v_lshlrev_b64 v[12:13], 4, v[12:13]
	s_delay_alu instid0(VALU_DEP_1) | instskip(NEXT) | instid1(VALU_DEP_2)
	v_add_co_u32 v12, vcc_lo, s8, v12
	v_add_co_ci_u32_e32 v13, vcc_lo, s9, v13, vcc_lo
	s_and_b32 vcc_lo, exec_lo, s26
	global_load_b128 v[12:15], v[12:13], off
	s_cbranch_vccz .LBB22_46
; %bb.43:                               ;   in Loop: Header=BB22_36 Depth=4
	v_mad_u64_u32 v[31:32], null, v46, s14, v[25:26]
	s_cbranch_execnz .LBB22_35
	s_branch .LBB22_34
.LBB22_44:                              ;   in Loop: Header=BB22_36 Depth=4
                                        ; implicit-def: $vgpr8
	s_branch .LBB22_38
.LBB22_45:                              ;   in Loop: Header=BB22_36 Depth=4
                                        ; implicit-def: $vgpr12
	v_add_nc_u32_e32 v47, v44, v45
	s_branch .LBB22_41
.LBB22_46:                              ;   in Loop: Header=BB22_36 Depth=4
                                        ; implicit-def: $vgpr31
	s_branch .LBB22_34
.LBB22_47:                              ;   in Loop: Header=BB22_26 Depth=3
                                        ; implicit-def: $vgpr4
	v_add_nc_u32_e32 v10, v25, v37
	s_branch .LBB22_28
.LBB22_48:                              ;   in Loop: Header=BB22_26 Depth=3
                                        ; implicit-def: $vgpr8
	s_branch .LBB22_31
.LBB22_49:                              ;   in Loop: Header=BB22_13 Depth=1
	s_or_b32 exec_lo, exec_lo, s38
.LBB22_50:                              ;   in Loop: Header=BB22_13 Depth=1
	v_subrev_nc_u32_e32 v12, s24, v39
	v_add_nc_u32_e32 v4, 1, v38
	s_mov_b32 s4, exec_lo
	s_delay_alu instid0(VALU_DEP_1)
	v_cmpx_lt_i32_e64 v4, v12
	s_cbranch_execz .LBB22_11
; %bb.51:                               ;   in Loop: Header=BB22_13 Depth=1
	v_mul_lo_u32 v13, s31, v4
	s_mov_b32 s5, 0
	s_branch .LBB22_54
.LBB22_52:                              ;   in Loop: Header=BB22_54 Depth=2
	s_or_b32 exec_lo, exec_lo, s38
.LBB22_53:                              ;   in Loop: Header=BB22_54 Depth=2
	v_add_nc_u32_e32 v4, 1, v4
	v_add_nc_u32_e32 v13, s31, v13
	s_delay_alu instid0(VALU_DEP_2) | instskip(SKIP_1) | instid1(SALU_CYCLE_1)
	v_cmp_ge_i32_e32 vcc_lo, v4, v12
	s_or_b32 s5, vcc_lo, s5
	s_and_not1_b32 exec_lo, exec_lo, s5
	s_cbranch_execz .LBB22_11
.LBB22_54:                              ;   Parent Loop BB22_13 Depth=1
                                        ; =>  This Loop Header: Depth=2
                                        ;       Child Loop BB22_59 Depth 3
                                        ;       Child Loop BB22_66 Depth 3
                                        ;         Child Loop BB22_69 Depth 4
                                        ;           Child Loop BB22_71 Depth 5
	v_ashrrev_i32_e32 v5, 31, v4
	s_waitcnt lgkmcnt(0)
	s_delay_alu instid0(VALU_DEP_1) | instskip(NEXT) | instid1(VALU_DEP_1)
	v_lshlrev_b64 v[0:1], 2, v[4:5]
	v_add_co_u32 v0, vcc_lo, s6, v0
	s_delay_alu instid0(VALU_DEP_2)
	v_add_co_ci_u32_e32 v1, vcc_lo, s7, v1, vcc_lo
	global_load_b32 v0, v[0:1], off
	v_mov_b32_e32 v1, s21
	s_and_saveexec_b32 s38, s2
	s_cbranch_execz .LBB22_56
; %bb.55:                               ;   in Loop: Header=BB22_54 Depth=2
	global_load_b32 v1, v[27:28], off
	s_waitcnt vmcnt(0)
	v_subrev_nc_u32_e32 v1, s24, v1
.LBB22_56:                              ;   in Loop: Header=BB22_54 Depth=2
	s_or_b32 exec_lo, exec_lo, s38
	s_waitcnt vmcnt(0)
	v_subrev_nc_u32_e32 v2, s24, v0
	v_mov_b32_e32 v3, v26
	s_mov_b32 s38, exec_lo
	s_delay_alu instid0(VALU_DEP_2)
	v_cmpx_lt_i32_e64 v1, v2
	s_cbranch_execz .LBB22_62
; %bb.57:                               ;   in Loop: Header=BB22_54 Depth=2
	v_mov_b32_e32 v0, v26
	s_mov_b32 s39, 0
	s_branch .LBB22_59
	.p2align	6
.LBB22_58:                              ;   in Loop: Header=BB22_59 Depth=3
	s_or_b32 exec_lo, exec_lo, s40
	s_delay_alu instid0(VALU_DEP_1) | instskip(SKIP_2) | instid1(SALU_CYCLE_1)
	v_cmp_ge_i32_e32 vcc_lo, v1, v2
	v_mov_b32_e32 v0, v3
	s_or_b32 s39, vcc_lo, s39
	s_and_not1_b32 exec_lo, exec_lo, s39
	s_cbranch_execz .LBB22_61
.LBB22_59:                              ;   Parent Loop BB22_13 Depth=1
                                        ;     Parent Loop BB22_54 Depth=2
                                        ; =>    This Inner Loop Header: Depth=3
	s_delay_alu instid0(VALU_DEP_1) | instskip(SKIP_2) | instid1(VALU_DEP_2)
	v_add_nc_u32_e32 v3, 32, v0
	v_mov_b32_e32 v1, s21
	s_mov_b32 s40, exec_lo
	v_cmpx_lt_i32_e64 v3, v33
	s_cbranch_execz .LBB22_58
; %bb.60:                               ;   in Loop: Header=BB22_59 Depth=3
	v_ashrrev_i32_e32 v1, 31, v0
	s_delay_alu instid0(VALU_DEP_1) | instskip(NEXT) | instid1(VALU_DEP_1)
	v_lshlrev_b64 v[0:1], 2, v[0:1]
	v_add_co_u32 v0, vcc_lo, s29, v0
	s_delay_alu instid0(VALU_DEP_2)
	v_add_co_ci_u32_e32 v1, vcc_lo, s30, v1, vcc_lo
	global_load_b32 v0, v[0:1], off
	s_waitcnt vmcnt(0)
	v_subrev_nc_u32_e32 v1, s24, v0
	s_branch .LBB22_58
.LBB22_61:                              ;   in Loop: Header=BB22_54 Depth=2
	s_or_b32 exec_lo, exec_lo, s39
.LBB22_62:                              ;   in Loop: Header=BB22_54 Depth=2
	s_delay_alu instid0(SALU_CYCLE_1)
	s_or_b32 exec_lo, exec_lo, s38
	v_cmp_eq_u32_e32 vcc_lo, v1, v2
	s_cbranch_vccz .LBB22_53
; %bb.63:                               ;   in Loop: Header=BB22_54 Depth=2
	s_ctz_i32_b32 s38, vcc_lo
	s_delay_alu instid0(SALU_CYCLE_1) | instskip(NEXT) | instid1(SALU_CYCLE_1)
	s_lshl_b32 s38, s38, 2
	v_mov_b32_e32 v0, s38
	ds_bpermute_b32 v0, v0, v3
	s_and_saveexec_b32 s38, s0
	s_cbranch_execz .LBB22_52
; %bb.64:                               ;   in Loop: Header=BB22_54 Depth=2
	v_mul_lo_u32 v14, v4, s14
	s_waitcnt lgkmcnt(0)
	v_mul_lo_u32 v15, v0, s14
	v_mov_b32_e32 v21, v36
	v_mov_b32_e32 v5, v19
	s_mov_b32 s39, 0
	s_branch .LBB22_66
.LBB22_65:                              ;   in Loop: Header=BB22_66 Depth=3
	v_add_nc_u32_e32 v5, 32, v5
	v_add_nc_u32_e32 v21, s33, v21
	s_delay_alu instid0(VALU_DEP_2) | instskip(SKIP_1) | instid1(SALU_CYCLE_1)
	v_cmp_le_i32_e32 vcc_lo, s14, v5
	s_or_b32 s39, vcc_lo, s39
	s_and_not1_b32 exec_lo, exec_lo, s39
	s_cbranch_execz .LBB22_52
.LBB22_66:                              ;   Parent Loop BB22_13 Depth=1
                                        ;     Parent Loop BB22_54 Depth=2
                                        ; =>    This Loop Header: Depth=3
                                        ;         Child Loop BB22_69 Depth 4
                                        ;           Child Loop BB22_71 Depth 5
	s_delay_alu instid0(VALU_DEP_1) | instskip(SKIP_2) | instid1(VALU_DEP_2)
	v_add_nc_u32_e32 v0, v5, v15
	v_mov_b32_e32 v29, v13
	s_mov_b32 s40, 0
	v_mul_lo_u32 v25, v0, s14
	s_branch .LBB22_69
.LBB22_67:                              ;   in Loop: Header=BB22_69 Depth=4
	v_add_nc_u32_e32 v0, s40, v25
.LBB22_68:                              ;   in Loop: Header=BB22_69 Depth=4
	s_delay_alu instid0(VALU_DEP_1) | instskip(SKIP_2) | instid1(SALU_CYCLE_1)
	v_ashrrev_i32_e32 v1, 31, v0
	v_add_nc_u32_e32 v29, 1, v29
	s_add_i32 s40, s40, 1
	s_cmp_eq_u32 s40, s14
	s_delay_alu instid0(VALU_DEP_2) | instskip(NEXT) | instid1(VALU_DEP_1)
	v_lshlrev_b64 v[0:1], 4, v[0:1]
	v_add_co_u32 v10, vcc_lo, s8, v0
	s_delay_alu instid0(VALU_DEP_2)
	v_add_co_ci_u32_e32 v11, vcc_lo, s9, v1, vcc_lo
	global_load_b128 v[0:3], v[10:11], off
	s_waitcnt vmcnt(0)
	v_add_f64 v[0:1], v[0:1], -v[6:7]
	v_add_f64 v[2:3], v[2:3], -v[8:9]
	global_store_b128 v[10:11], v[0:3], off
	s_cbranch_scc1 .LBB22_65
.LBB22_69:                              ;   Parent Loop BB22_13 Depth=1
                                        ;     Parent Loop BB22_54 Depth=2
                                        ;       Parent Loop BB22_66 Depth=3
                                        ; =>      This Loop Header: Depth=4
                                        ;           Child Loop BB22_71 Depth 5
	v_add_nc_u32_e32 v0, s40, v14
	v_dual_mov_b32 v6, 0 :: v_dual_mov_b32 v31, v29
	v_mov_b32_e32 v7, 0
	s_mov_b32 s41, 0
	s_delay_alu instid0(VALU_DEP_3) | instskip(NEXT) | instid1(VALU_DEP_2)
	v_mul_lo_u32 v30, v0, s14
	v_dual_mov_b32 v9, v7 :: v_dual_mov_b32 v8, v6
	s_set_inst_prefetch_distance 0x1
	s_branch .LBB22_71
	.p2align	6
.LBB22_70:                              ;   in Loop: Header=BB22_71 Depth=5
	s_delay_alu instid0(VALU_DEP_1) | instskip(SKIP_2) | instid1(SALU_CYCLE_1)
	v_ashrrev_i32_e32 v11, 31, v10
	v_add_nc_u32_e32 v31, s14, v31
	s_add_i32 s41, s41, 1
	s_cmp_eq_u32 s14, s41
	s_delay_alu instid0(VALU_DEP_2) | instskip(NEXT) | instid1(VALU_DEP_1)
	v_lshlrev_b64 v[10:11], 4, v[10:11]
	v_add_co_u32 v10, vcc_lo, s8, v10
	s_delay_alu instid0(VALU_DEP_2) | instskip(SKIP_4) | instid1(VALU_DEP_2)
	v_add_co_ci_u32_e32 v11, vcc_lo, s9, v11, vcc_lo
	global_load_b128 v[38:41], v[10:11], off
	s_waitcnt vmcnt(0)
	v_fma_f64 v[6:7], v[0:1], v[38:39], v[6:7]
	v_fma_f64 v[8:9], v[2:3], v[38:39], v[8:9]
	v_fma_f64 v[6:7], -v[2:3], v[40:41], v[6:7]
	s_delay_alu instid0(VALU_DEP_2)
	v_fma_f64 v[8:9], v[0:1], v[40:41], v[8:9]
	s_cbranch_scc1 .LBB22_77
.LBB22_71:                              ;   Parent Loop BB22_13 Depth=1
                                        ;     Parent Loop BB22_54 Depth=2
                                        ;       Parent Loop BB22_66 Depth=3
                                        ;         Parent Loop BB22_69 Depth=4
                                        ; =>        This Inner Loop Header: Depth=5
	s_and_b32 vcc_lo, exec_lo, s26
	s_cbranch_vccz .LBB22_76
; %bb.72:                               ;   in Loop: Header=BB22_71 Depth=5
	v_add_nc_u32_e32 v2, s41, v37
	s_delay_alu instid0(VALU_DEP_1)
	v_mad_u64_u32 v[0:1], null, v2, s14, v[5:6]
	s_cbranch_execnz .LBB22_74
.LBB22_73:                              ;   in Loop: Header=BB22_71 Depth=5
	v_add_nc_u32_e32 v0, s41, v21
.LBB22_74:                              ;   in Loop: Header=BB22_71 Depth=5
	s_delay_alu instid0(VALU_DEP_1) | instskip(SKIP_1) | instid1(VALU_DEP_2)
	v_ashrrev_i32_e32 v1, 31, v0
	v_mov_b32_e32 v10, v31
	v_lshlrev_b64 v[0:1], 4, v[0:1]
	s_delay_alu instid0(VALU_DEP_1) | instskip(NEXT) | instid1(VALU_DEP_2)
	v_add_co_u32 v0, vcc_lo, s8, v0
	v_add_co_ci_u32_e32 v1, vcc_lo, s9, v1, vcc_lo
	s_and_not1_b32 vcc_lo, exec_lo, s26
	global_load_b128 v[0:3], v[0:1], off
	s_cbranch_vccnz .LBB22_70
; %bb.75:                               ;   in Loop: Header=BB22_71 Depth=5
	v_add_nc_u32_e32 v10, s41, v30
	s_branch .LBB22_70
.LBB22_76:                              ;   in Loop: Header=BB22_71 Depth=5
                                        ; implicit-def: $vgpr0
	s_branch .LBB22_73
.LBB22_77:                              ;   in Loop: Header=BB22_69 Depth=4
	s_set_inst_prefetch_distance 0x2
	s_and_b32 vcc_lo, exec_lo, s26
	s_cbranch_vccz .LBB22_79
; %bb.78:                               ;   in Loop: Header=BB22_69 Depth=4
	v_add_nc_u32_e32 v2, s40, v15
	s_delay_alu instid0(VALU_DEP_1)
	v_mad_u64_u32 v[0:1], null, v2, s14, v[5:6]
	s_cbranch_execnz .LBB22_68
	s_branch .LBB22_67
.LBB22_79:                              ;   in Loop: Header=BB22_69 Depth=4
                                        ; implicit-def: $vgpr0
	s_branch .LBB22_67
.LBB22_80:
	s_or_b32 exec_lo, exec_lo, s34
	s_delay_alu instid0(SALU_CYCLE_1)
	s_and_b32 s3, s35, exec_lo
.LBB22_81:
	s_or_b32 exec_lo, exec_lo, s22
	v_ashrrev_i32_e32 v21, 31, v20
	s_waitcnt lgkmcnt(0)
	s_cmp_gt_i32 s14, 0
	s_cselect_b32 s4, -1, 0
	s_delay_alu instid0(VALU_DEP_1) | instskip(NEXT) | instid1(VALU_DEP_1)
	v_lshlrev_b64 v[0:1], 2, v[20:21]
	v_add_co_u32 v0, vcc_lo, s6, v0
	s_delay_alu instid0(VALU_DEP_2) | instskip(SKIP_4) | instid1(VALU_DEP_1)
	v_add_co_ci_u32_e32 v1, vcc_lo, s7, v1, vcc_lo
	s_mov_b32 s6, 0
	global_load_b32 v0, v[0:1], off
	s_waitcnt vmcnt(0)
	v_subrev_nc_u32_e32 v0, s24, v0
	v_cmp_eq_u32_e32 vcc_lo, v0, v16
	s_and_b32 s0, s4, vcc_lo
	s_delay_alu instid0(SALU_CYCLE_1)
	s_and_saveexec_b32 s5, s0
	s_cbranch_execz .LBB22_127
; %bb.82:
	v_cvt_f64_f32_e32 v[0:1], v35
	v_mul_lo_u32 v29, v20, s14
	s_cmp_eq_u64 s[16:17], 8
	v_cmp_eq_u32_e64 s0, 0, v19
	s_cselect_b32 vcc_lo, -1, 0
	v_mov_b32_e32 v21, 0
	v_mov_b32_e32 v31, 16
	s_cmp_lg_u32 s20, 0
	s_mov_b32 s16, s3
	v_add3_u32 v30, v29, v19, 1
	s_cselect_b32 s7, -1, 0
	s_lshl_b32 s10, s14, 5
                                        ; implicit-def: $sgpr11
	v_dual_cndmask_b32 v22, v0, v22 :: v_dual_cndmask_b32 v23, v1, v23
	s_branch .LBB22_84
.LBB22_83:                              ;   in Loop: Header=BB22_84 Depth=1
	s_or_b32 exec_lo, exec_lo, s1
	s_delay_alu instid0(VALU_DEP_1) | instskip(SKIP_4) | instid1(SALU_CYCLE_1)
	v_cmp_eq_u32_e32 vcc_lo, s14, v35
	v_mov_b32_e32 v21, v35
	s_or_b32 s6, vcc_lo, s6
	s_and_not1_b32 s1, s11, exec_lo
	s_and_b32 s2, s16, exec_lo
	s_or_b32 s11, s1, s2
	s_and_not1_b32 exec_lo, exec_lo, s6
	s_cbranch_execz .LBB22_126
.LBB22_84:                              ; =>This Loop Header: Depth=1
                                        ;     Child Loop BB22_100 Depth 2
                                        ;       Child Loop BB22_110 Depth 3
	v_add_nc_u32_e32 v0, v21, v29
	s_mov_b32 s1, -1
	s_mov_b32 s17, 0
	s_mov_b32 s2, 0
	s_delay_alu instid0(VALU_DEP_1) | instskip(NEXT) | instid1(VALU_DEP_1)
	v_mul_lo_u32 v32, v0, s14
	v_add_nc_u32_e32 v0, v32, v21
	s_delay_alu instid0(VALU_DEP_1) | instskip(NEXT) | instid1(VALU_DEP_1)
	v_ashrrev_i32_e32 v1, 31, v0
	v_lshlrev_b64 v[0:1], 4, v[0:1]
	s_delay_alu instid0(VALU_DEP_1) | instskip(NEXT) | instid1(VALU_DEP_2)
	v_add_co_u32 v4, vcc_lo, s8, v0
	v_add_co_ci_u32_e32 v5, vcc_lo, s9, v1, vcc_lo
	v_cmp_ne_u32_e32 vcc_lo, 1, v34
	global_load_b128 v[0:3], v[4:5], off
	s_waitcnt vmcnt(0)
	scratch_store_b128 off, v[0:3], off offset:16
	s_cbranch_vccnz .LBB22_94
; %bb.85:                               ;   in Loop: Header=BB22_84 Depth=1
	v_cmp_gt_f64_e32 vcc_lo, 0, v[0:1]
	v_cmp_gt_f64_e64 s1, 0, v[2:3]
	v_xor_b32_e32 v6, 0x80000000, v1
	v_xor_b32_e32 v8, 0x80000000, v3
                                        ; implicit-def: $vgpr10_vgpr11
	s_delay_alu instid0(VALU_DEP_2) | instskip(NEXT) | instid1(VALU_DEP_2)
	v_dual_cndmask_b32 v7, v1, v6 :: v_dual_cndmask_b32 v6, v0, v0
	v_cndmask_b32_e64 v9, v3, v8, s1
	v_cndmask_b32_e64 v8, v2, v2, s1
	s_mov_b32 s1, exec_lo
	s_delay_alu instid0(VALU_DEP_1)
	v_cmpx_ngt_f64_e32 v[6:7], v[8:9]
	s_xor_b32 s1, exec_lo, s1
	s_cbranch_execz .LBB22_89
; %bb.86:                               ;   in Loop: Header=BB22_84 Depth=1
	v_mov_b32_e32 v10, 0
	v_mov_b32_e32 v11, 0
	s_mov_b32 s2, exec_lo
	v_cmpx_neq_f64_e32 0, v[2:3]
	s_cbranch_execz .LBB22_88
; %bb.87:                               ;   in Loop: Header=BB22_84 Depth=1
	v_div_scale_f64 v[10:11], null, v[8:9], v[8:9], v[6:7]
	v_div_scale_f64 v[24:25], vcc_lo, v[6:7], v[8:9], v[6:7]
	s_delay_alu instid0(VALU_DEP_2) | instskip(SKIP_2) | instid1(VALU_DEP_1)
	v_rcp_f64_e32 v[12:13], v[10:11]
	s_waitcnt_depctr 0xfff
	v_fma_f64 v[14:15], -v[10:11], v[12:13], 1.0
	v_fma_f64 v[12:13], v[12:13], v[14:15], v[12:13]
	s_delay_alu instid0(VALU_DEP_1) | instskip(NEXT) | instid1(VALU_DEP_1)
	v_fma_f64 v[14:15], -v[10:11], v[12:13], 1.0
	v_fma_f64 v[12:13], v[12:13], v[14:15], v[12:13]
	s_delay_alu instid0(VALU_DEP_1) | instskip(NEXT) | instid1(VALU_DEP_1)
	v_mul_f64 v[14:15], v[24:25], v[12:13]
	v_fma_f64 v[10:11], -v[10:11], v[14:15], v[24:25]
	s_delay_alu instid0(VALU_DEP_1) | instskip(NEXT) | instid1(VALU_DEP_1)
	v_div_fmas_f64 v[10:11], v[10:11], v[12:13], v[14:15]
	v_div_fixup_f64 v[6:7], v[10:11], v[8:9], v[6:7]
	s_delay_alu instid0(VALU_DEP_1) | instskip(NEXT) | instid1(VALU_DEP_1)
	v_fma_f64 v[6:7], v[6:7], v[6:7], 1.0
	v_cmp_gt_f64_e32 vcc_lo, 0x10000000, v[6:7]
	v_cndmask_b32_e64 v10, 0, 1, vcc_lo
	s_delay_alu instid0(VALU_DEP_1) | instskip(NEXT) | instid1(VALU_DEP_1)
	v_lshlrev_b32_e32 v10, 8, v10
	v_ldexp_f64 v[6:7], v[6:7], v10
	s_delay_alu instid0(VALU_DEP_1) | instskip(SKIP_3) | instid1(VALU_DEP_1)
	v_rsq_f64_e32 v[10:11], v[6:7]
	s_waitcnt_depctr 0xfff
	v_mul_f64 v[12:13], v[6:7], v[10:11]
	v_mul_f64 v[10:11], v[10:11], 0.5
	v_fma_f64 v[14:15], -v[10:11], v[12:13], 0.5
	s_delay_alu instid0(VALU_DEP_1) | instskip(SKIP_1) | instid1(VALU_DEP_2)
	v_fma_f64 v[12:13], v[12:13], v[14:15], v[12:13]
	v_fma_f64 v[10:11], v[10:11], v[14:15], v[10:11]
	v_fma_f64 v[14:15], -v[12:13], v[12:13], v[6:7]
	s_delay_alu instid0(VALU_DEP_1) | instskip(NEXT) | instid1(VALU_DEP_1)
	v_fma_f64 v[12:13], v[14:15], v[10:11], v[12:13]
	v_fma_f64 v[14:15], -v[12:13], v[12:13], v[6:7]
	s_delay_alu instid0(VALU_DEP_1) | instskip(SKIP_2) | instid1(VALU_DEP_2)
	v_fma_f64 v[10:11], v[14:15], v[10:11], v[12:13]
	v_cndmask_b32_e64 v12, 0, 0xffffff80, vcc_lo
	v_cmp_class_f64_e64 vcc_lo, v[6:7], 0x260
	v_ldexp_f64 v[10:11], v[10:11], v12
	s_delay_alu instid0(VALU_DEP_1) | instskip(NEXT) | instid1(VALU_DEP_1)
	v_dual_cndmask_b32 v7, v11, v7 :: v_dual_cndmask_b32 v6, v10, v6
	v_mul_f64 v[10:11], v[8:9], v[6:7]
.LBB22_88:                              ;   in Loop: Header=BB22_84 Depth=1
	s_or_b32 exec_lo, exec_lo, s2
                                        ; implicit-def: $vgpr6_vgpr7
                                        ; implicit-def: $vgpr8_vgpr9
.LBB22_89:                              ;   in Loop: Header=BB22_84 Depth=1
	s_and_not1_saveexec_b32 s1, s1
	s_cbranch_execz .LBB22_91
; %bb.90:                               ;   in Loop: Header=BB22_84 Depth=1
	v_div_scale_f64 v[10:11], null, v[6:7], v[6:7], v[8:9]
	v_div_scale_f64 v[24:25], vcc_lo, v[8:9], v[6:7], v[8:9]
	s_delay_alu instid0(VALU_DEP_2) | instskip(SKIP_2) | instid1(VALU_DEP_1)
	v_rcp_f64_e32 v[12:13], v[10:11]
	s_waitcnt_depctr 0xfff
	v_fma_f64 v[14:15], -v[10:11], v[12:13], 1.0
	v_fma_f64 v[12:13], v[12:13], v[14:15], v[12:13]
	s_delay_alu instid0(VALU_DEP_1) | instskip(NEXT) | instid1(VALU_DEP_1)
	v_fma_f64 v[14:15], -v[10:11], v[12:13], 1.0
	v_fma_f64 v[12:13], v[12:13], v[14:15], v[12:13]
	s_delay_alu instid0(VALU_DEP_1) | instskip(NEXT) | instid1(VALU_DEP_1)
	v_mul_f64 v[14:15], v[24:25], v[12:13]
	v_fma_f64 v[10:11], -v[10:11], v[14:15], v[24:25]
	s_delay_alu instid0(VALU_DEP_1) | instskip(NEXT) | instid1(VALU_DEP_1)
	v_div_fmas_f64 v[10:11], v[10:11], v[12:13], v[14:15]
	v_div_fixup_f64 v[8:9], v[10:11], v[6:7], v[8:9]
	s_delay_alu instid0(VALU_DEP_1) | instskip(NEXT) | instid1(VALU_DEP_1)
	v_fma_f64 v[8:9], v[8:9], v[8:9], 1.0
	v_cmp_gt_f64_e32 vcc_lo, 0x10000000, v[8:9]
	v_cndmask_b32_e64 v10, 0, 1, vcc_lo
	s_delay_alu instid0(VALU_DEP_1) | instskip(NEXT) | instid1(VALU_DEP_1)
	v_lshlrev_b32_e32 v10, 8, v10
	v_ldexp_f64 v[8:9], v[8:9], v10
	s_delay_alu instid0(VALU_DEP_1) | instskip(SKIP_3) | instid1(VALU_DEP_1)
	v_rsq_f64_e32 v[10:11], v[8:9]
	s_waitcnt_depctr 0xfff
	v_mul_f64 v[12:13], v[8:9], v[10:11]
	v_mul_f64 v[10:11], v[10:11], 0.5
	v_fma_f64 v[14:15], -v[10:11], v[12:13], 0.5
	s_delay_alu instid0(VALU_DEP_1) | instskip(SKIP_1) | instid1(VALU_DEP_2)
	v_fma_f64 v[12:13], v[12:13], v[14:15], v[12:13]
	v_fma_f64 v[10:11], v[10:11], v[14:15], v[10:11]
	v_fma_f64 v[14:15], -v[12:13], v[12:13], v[8:9]
	s_delay_alu instid0(VALU_DEP_1) | instskip(NEXT) | instid1(VALU_DEP_1)
	v_fma_f64 v[12:13], v[14:15], v[10:11], v[12:13]
	v_fma_f64 v[14:15], -v[12:13], v[12:13], v[8:9]
	s_delay_alu instid0(VALU_DEP_1) | instskip(SKIP_2) | instid1(VALU_DEP_2)
	v_fma_f64 v[10:11], v[14:15], v[10:11], v[12:13]
	v_cndmask_b32_e64 v12, 0, 0xffffff80, vcc_lo
	v_cmp_class_f64_e64 vcc_lo, v[8:9], 0x260
	v_ldexp_f64 v[10:11], v[10:11], v12
	s_delay_alu instid0(VALU_DEP_1) | instskip(NEXT) | instid1(VALU_DEP_1)
	v_dual_cndmask_b32 v9, v11, v9 :: v_dual_cndmask_b32 v8, v10, v8
	v_mul_f64 v[10:11], v[6:7], v[8:9]
.LBB22_91:                              ;   in Loop: Header=BB22_84 Depth=1
	s_or_b32 exec_lo, exec_lo, s1
	s_delay_alu instid0(VALU_DEP_1)
	v_cmp_le_f64_e32 vcc_lo, v[10:11], v[22:23]
	v_cndmask_b32_e64 v6, v31, 0, vcc_lo
	scratch_load_b128 v[7:10], v6, off
	s_waitcnt vmcnt(0)
	scratch_store_b128 off, v[7:10], off offset:16
	s_and_saveexec_b32 s1, s0
	s_cbranch_execz .LBB22_93
; %bb.92:                               ;   in Loop: Header=BB22_84 Depth=1
	scratch_load_b128 v[6:9], v6, off
	s_waitcnt vmcnt(0)
	global_store_b128 v[4:5], v[6:9], off
.LBB22_93:                              ;   in Loop: Header=BB22_84 Depth=1
	s_or_b32 exec_lo, exec_lo, s1
	s_mov_b32 s2, -1
	s_branch .LBB22_96
.LBB22_94:                              ;   in Loop: Header=BB22_84 Depth=1
	s_and_b32 vcc_lo, exec_lo, s1
	s_cbranch_vccz .LBB22_96
; %bb.95:                               ;   in Loop: Header=BB22_84 Depth=1
	v_cmp_neq_f64_e32 vcc_lo, 0, v[0:1]
	v_cmp_neq_f64_e64 s1, 0, v[2:3]
	s_and_not1_b32 s2, s2, exec_lo
	s_mov_b32 s17, -1
	s_delay_alu instid0(VALU_DEP_1) | instskip(NEXT) | instid1(SALU_CYCLE_1)
	s_or_b32 s1, vcc_lo, s1
	s_and_b32 s1, s1, exec_lo
	s_delay_alu instid0(SALU_CYCLE_1)
	s_or_b32 s2, s2, s1
.LBB22_96:                              ;   in Loop: Header=BB22_84 Depth=1
                                        ; implicit-def: $sgpr1
                                        ; implicit-def: $vgpr35
	s_delay_alu instid0(SALU_CYCLE_1) | instskip(NEXT) | instid1(SALU_CYCLE_1)
	s_and_saveexec_b32 s21, s2
	s_xor_b32 s21, exec_lo, s21
	s_cbranch_execz .LBB22_124
; %bb.97:                               ;   in Loop: Header=BB22_84 Depth=1
	v_add_nc_u32_e32 v35, 1, v21
	s_mov_b32 s22, exec_lo
	s_delay_alu instid0(VALU_DEP_1) | instskip(NEXT) | instid1(VALU_DEP_1)
	v_add_nc_u32_e32 v24, v35, v19
	v_cmpx_gt_i32_e64 s14, v24
	s_cbranch_execz .LBB22_123
; %bb.98:                               ;   in Loop: Header=BB22_84 Depth=1
	scratch_load_b128 v[0:3], off, off offset:16
	v_cmp_gt_i32_e64 s1, s14, v35
	s_mov_b32 s23, 0
	s_waitcnt vmcnt(0)
	v_mul_f64 v[4:5], v[2:3], v[2:3]
	s_delay_alu instid0(VALU_DEP_1) | instskip(NEXT) | instid1(VALU_DEP_1)
	v_fma_f64 v[4:5], v[0:1], v[0:1], v[4:5]
	v_div_scale_f64 v[6:7], null, v[4:5], v[4:5], 1.0
	s_delay_alu instid0(VALU_DEP_1) | instskip(SKIP_2) | instid1(VALU_DEP_1)
	v_rcp_f64_e32 v[8:9], v[6:7]
	s_waitcnt_depctr 0xfff
	v_fma_f64 v[10:11], -v[6:7], v[8:9], 1.0
	v_fma_f64 v[8:9], v[8:9], v[10:11], v[8:9]
	s_delay_alu instid0(VALU_DEP_1) | instskip(NEXT) | instid1(VALU_DEP_1)
	v_fma_f64 v[10:11], -v[6:7], v[8:9], 1.0
	v_fma_f64 v[8:9], v[8:9], v[10:11], v[8:9]
	v_div_scale_f64 v[10:11], vcc_lo, 1.0, v[4:5], 1.0
	s_delay_alu instid0(VALU_DEP_1) | instskip(NEXT) | instid1(VALU_DEP_1)
	v_mul_f64 v[12:13], v[10:11], v[8:9]
	v_fma_f64 v[6:7], -v[6:7], v[12:13], v[10:11]
	s_delay_alu instid0(VALU_DEP_1) | instskip(NEXT) | instid1(VALU_DEP_1)
	v_div_fmas_f64 v[6:7], v[6:7], v[8:9], v[12:13]
	v_div_fixup_f64 v[25:26], v[6:7], v[4:5], 1.0
	v_add_nc_u32_e32 v4, v30, v21
	s_delay_alu instid0(VALU_DEP_1)
	v_mul_lo_u32 v36, s14, v4
	s_branch .LBB22_100
.LBB22_99:                              ;   in Loop: Header=BB22_100 Depth=2
	s_or_b32 exec_lo, exec_lo, s25
	v_add_nc_u32_e32 v24, 32, v24
	v_add_nc_u32_e32 v36, s10, v36
	s_delay_alu instid0(VALU_DEP_2) | instskip(SKIP_1) | instid1(SALU_CYCLE_1)
	v_cmp_le_i32_e32 vcc_lo, s14, v24
	s_or_b32 s23, vcc_lo, s23
	s_and_not1_b32 exec_lo, exec_lo, s23
	s_cbranch_execz .LBB22_123
.LBB22_100:                             ;   Parent Loop BB22_84 Depth=1
                                        ; =>  This Loop Header: Depth=2
                                        ;       Child Loop BB22_110 Depth 3
	v_add_nc_u32_e32 v8, v24, v32
	s_and_b32 vcc_lo, exec_lo, s7
	s_cbranch_vccz .LBB22_121
; %bb.101:                              ;   in Loop: Header=BB22_100 Depth=2
	v_add_nc_u32_e32 v4, v24, v32
	s_cbranch_execnz .LBB22_103
.LBB22_102:                             ;   in Loop: Header=BB22_100 Depth=2
	v_add_nc_u32_e32 v6, v24, v29
	s_delay_alu instid0(VALU_DEP_1)
	v_mad_u64_u32 v[4:5], null, v6, s14, v[21:22]
.LBB22_103:                             ;   in Loop: Header=BB22_100 Depth=2
	s_delay_alu instid0(VALU_DEP_1) | instskip(NEXT) | instid1(VALU_DEP_1)
	v_ashrrev_i32_e32 v5, 31, v4
	v_lshlrev_b64 v[4:5], 4, v[4:5]
	s_delay_alu instid0(VALU_DEP_1) | instskip(NEXT) | instid1(VALU_DEP_2)
	v_add_co_u32 v4, vcc_lo, s8, v4
	v_add_co_ci_u32_e32 v5, vcc_lo, s9, v5, vcc_lo
	s_and_b32 vcc_lo, exec_lo, s7
	global_load_b128 v[4:7], v[4:5], off
	s_cbranch_vccz .LBB22_122
; %bb.104:                              ;   in Loop: Header=BB22_100 Depth=2
	s_cbranch_execnz .LBB22_106
.LBB22_105:                             ;   in Loop: Header=BB22_100 Depth=2
	v_add_nc_u32_e32 v10, v24, v29
	s_delay_alu instid0(VALU_DEP_1)
	v_mad_u64_u32 v[8:9], null, v10, s14, v[21:22]
.LBB22_106:                             ;   in Loop: Header=BB22_100 Depth=2
	s_waitcnt vmcnt(0)
	v_mul_f64 v[9:10], v[2:3], v[6:7]
	v_mul_f64 v[11:12], v[2:3], -v[4:5]
	s_delay_alu instid0(VALU_DEP_2) | instskip(NEXT) | instid1(VALU_DEP_2)
	v_fma_f64 v[4:5], v[4:5], v[0:1], v[9:10]
	v_fma_f64 v[6:7], v[6:7], v[0:1], v[11:12]
	v_ashrrev_i32_e32 v9, 31, v8
	s_delay_alu instid0(VALU_DEP_1) | instskip(NEXT) | instid1(VALU_DEP_1)
	v_lshlrev_b64 v[8:9], 4, v[8:9]
	v_add_co_u32 v8, vcc_lo, s8, v8
	s_delay_alu instid0(VALU_DEP_2)
	v_add_co_ci_u32_e32 v9, vcc_lo, s9, v9, vcc_lo
	v_mul_f64 v[4:5], v[25:26], v[4:5]
	v_mul_f64 v[6:7], v[25:26], v[6:7]
	global_store_b128 v[8:9], v[4:7], off
	s_and_saveexec_b32 s25, s1
	s_cbranch_execz .LBB22_99
; %bb.107:                              ;   in Loop: Header=BB22_100 Depth=2
	v_mov_b32_e32 v37, v35
	s_mov_b32 s26, 0
	s_branch .LBB22_110
.LBB22_108:                             ;   in Loop: Header=BB22_110 Depth=3
	v_add_nc_u32_e32 v27, v36, v37
.LBB22_109:                             ;   in Loop: Header=BB22_110 Depth=3
	s_waitcnt vmcnt(0)
	v_fma_f64 v[12:13], -v[4:5], v[8:9], v[12:13]
	v_fma_f64 v[14:15], -v[6:7], v[8:9], v[14:15]
	s_delay_alu instid0(VALU_DEP_3) | instskip(SKIP_1) | instid1(VALU_DEP_1)
	v_ashrrev_i32_e32 v28, 31, v27
	v_add_nc_u32_e32 v37, 1, v37
	v_cmp_le_i32_e32 vcc_lo, s14, v37
	s_or_b32 s26, vcc_lo, s26
	v_fma_f64 v[8:9], v[6:7], v[10:11], v[12:13]
	v_fma_f64 v[10:11], -v[4:5], v[10:11], v[14:15]
	v_lshlrev_b64 v[12:13], 4, v[27:28]
	s_delay_alu instid0(VALU_DEP_1) | instskip(NEXT) | instid1(VALU_DEP_1)
	v_add_co_u32 v12, s2, s8, v12
	v_add_co_ci_u32_e64 v13, s2, s9, v13, s2
	global_store_b128 v[12:13], v[8:11], off
	s_and_not1_b32 exec_lo, exec_lo, s26
	s_cbranch_execz .LBB22_99
.LBB22_110:                             ;   Parent Loop BB22_84 Depth=1
                                        ;     Parent Loop BB22_100 Depth=2
                                        ; =>    This Inner Loop Header: Depth=3
	s_delay_alu instid0(VALU_DEP_1)
	v_add_nc_u32_e32 v38, v37, v29
	s_and_b32 vcc_lo, exec_lo, s7
	s_cbranch_vccz .LBB22_118
; %bb.111:                              ;   in Loop: Header=BB22_110 Depth=3
	s_delay_alu instid0(VALU_DEP_1)
	v_mad_u64_u32 v[8:9], null, v38, s14, v[21:22]
	s_cbranch_execnz .LBB22_113
.LBB22_112:                             ;   in Loop: Header=BB22_110 Depth=3
	v_add_nc_u32_e32 v8, v32, v37
.LBB22_113:                             ;   in Loop: Header=BB22_110 Depth=3
	s_delay_alu instid0(VALU_DEP_1) | instskip(NEXT) | instid1(VALU_DEP_1)
	v_ashrrev_i32_e32 v9, 31, v8
	v_lshlrev_b64 v[8:9], 4, v[8:9]
	s_delay_alu instid0(VALU_DEP_1) | instskip(NEXT) | instid1(VALU_DEP_2)
	v_add_co_u32 v8, vcc_lo, s8, v8
	v_add_co_ci_u32_e32 v9, vcc_lo, s9, v9, vcc_lo
	s_and_b32 vcc_lo, exec_lo, s7
	global_load_b128 v[8:11], v[8:9], off
	s_cbranch_vccz .LBB22_119
; %bb.114:                              ;   in Loop: Header=BB22_110 Depth=3
	v_mad_u64_u32 v[12:13], null, v38, s14, v[24:25]
	s_cbranch_execnz .LBB22_116
.LBB22_115:                             ;   in Loop: Header=BB22_110 Depth=3
	v_add_nc_u32_e32 v12, v36, v37
.LBB22_116:                             ;   in Loop: Header=BB22_110 Depth=3
	s_delay_alu instid0(VALU_DEP_1) | instskip(NEXT) | instid1(VALU_DEP_1)
	v_ashrrev_i32_e32 v13, 31, v12
	v_lshlrev_b64 v[12:13], 4, v[12:13]
	s_delay_alu instid0(VALU_DEP_1) | instskip(NEXT) | instid1(VALU_DEP_2)
	v_add_co_u32 v12, vcc_lo, s8, v12
	v_add_co_ci_u32_e32 v13, vcc_lo, s9, v13, vcc_lo
	s_and_b32 vcc_lo, exec_lo, s7
	global_load_b128 v[12:15], v[12:13], off
	s_cbranch_vccz .LBB22_120
; %bb.117:                              ;   in Loop: Header=BB22_110 Depth=3
	v_mad_u64_u32 v[27:28], null, v38, s14, v[24:25]
	s_cbranch_execnz .LBB22_109
	s_branch .LBB22_108
.LBB22_118:                             ;   in Loop: Header=BB22_110 Depth=3
                                        ; implicit-def: $vgpr8
	s_branch .LBB22_112
.LBB22_119:                             ;   in Loop: Header=BB22_110 Depth=3
                                        ; implicit-def: $vgpr12
	s_branch .LBB22_115
.LBB22_120:                             ;   in Loop: Header=BB22_110 Depth=3
                                        ; implicit-def: $vgpr27
	s_branch .LBB22_108
.LBB22_121:                             ;   in Loop: Header=BB22_100 Depth=2
                                        ; implicit-def: $vgpr4
	s_branch .LBB22_102
.LBB22_122:                             ;   in Loop: Header=BB22_100 Depth=2
                                        ; implicit-def: $vgpr8
	s_branch .LBB22_105
.LBB22_123:                             ;   in Loop: Header=BB22_84 Depth=1
	s_or_b32 exec_lo, exec_lo, s22
	s_delay_alu instid0(SALU_CYCLE_1)
	s_and_b32 s1, s16, exec_lo
	s_and_not1_b32 s17, s17, exec_lo
.LBB22_124:                             ;   in Loop: Header=BB22_84 Depth=1
	s_or_b32 exec_lo, exec_lo, s21
	s_delay_alu instid0(SALU_CYCLE_1) | instskip(SKIP_1) | instid1(SALU_CYCLE_1)
	s_and_not1_b32 s2, s16, exec_lo
	s_and_b32 s1, s1, exec_lo
	s_or_b32 s16, s2, s1
	s_and_saveexec_b32 s1, s17
	s_cbranch_execz .LBB22_83
; %bb.125:                              ;   in Loop: Header=BB22_84 Depth=1
	v_add_nc_u32_e32 v35, 1, v21
	s_or_b32 s16, s16, exec_lo
	s_branch .LBB22_83
.LBB22_126:
	s_or_b32 exec_lo, exec_lo, s6
	s_delay_alu instid0(SALU_CYCLE_1) | instskip(SKIP_1) | instid1(SALU_CYCLE_1)
	s_and_not1_b32 s0, s3, exec_lo
	s_and_b32 s1, s11, exec_lo
	s_or_b32 s3, s0, s1
.LBB22_127:
	s_or_b32 exec_lo, exec_lo, s5
	v_add_nc_u32_e32 v15, 1, v20
	s_mov_b32 s1, exec_lo
	s_delay_alu instid0(VALU_DEP_1)
	v_cmpx_lt_i32_e64 v15, v33
	s_cbranch_execz .LBB22_151
; %bb.128:
	v_mul_lo_u32 v20, v20, s14
	s_mul_i32 s2, s14, s14
	v_cmp_gt_i32_e64 s0, s14, v19
	v_mul_lo_u32 v0, s2, v15
	s_cmp_lg_u32 s20, 0
	s_mov_b32 s5, 0
	s_cselect_b32 s6, -1, 0
	s_add_i32 s7, s14, 1
	v_mad_u64_u32 v[12:13], null, s14, v20, s[14:15]
	s_delay_alu instid0(VALU_DEP_2)
	v_add3_u32 v21, v0, s14, v19
	s_branch .LBB22_130
.LBB22_129:                             ;   in Loop: Header=BB22_130 Depth=1
	v_add_nc_u32_e32 v15, 1, v15
	v_add_nc_u32_e32 v21, s2, v21
	s_delay_alu instid0(VALU_DEP_2) | instskip(SKIP_1) | instid1(SALU_CYCLE_1)
	v_cmp_ge_i32_e32 vcc_lo, v15, v33
	s_or_b32 s5, vcc_lo, s5
	s_and_not1_b32 exec_lo, exec_lo, s5
	s_cbranch_execz .LBB22_151
.LBB22_130:                             ; =>This Loop Header: Depth=1
                                        ;     Child Loop BB22_133 Depth 2
                                        ;       Child Loop BB22_136 Depth 3
                                        ;         Child Loop BB22_140 Depth 4
	s_and_not1_b32 vcc_lo, exec_lo, s4
	s_cbranch_vccnz .LBB22_129
; %bb.131:                              ;   in Loop: Header=BB22_130 Depth=1
	v_mul_lo_u32 v22, v15, s14
	s_delay_alu instid0(VALU_DEP_3)
	v_dual_mov_b32 v23, v21 :: v_dual_mov_b32 v24, v12
	s_mov_b32 s10, 0
	s_branch .LBB22_133
.LBB22_132:                             ;   in Loop: Header=BB22_133 Depth=2
	s_or_b32 exec_lo, exec_lo, s16
	v_add_nc_u32_e32 v24, s7, v24
	v_add_nc_u32_e32 v23, s14, v23
	s_cmp_eq_u32 s11, s14
	s_mov_b32 s10, s11
	s_cbranch_scc1 .LBB22_129
.LBB22_133:                             ;   Parent Loop BB22_130 Depth=1
                                        ; =>  This Loop Header: Depth=2
                                        ;       Child Loop BB22_136 Depth 3
                                        ;         Child Loop BB22_140 Depth 4
	s_add_i32 s11, s10, 1
	s_and_saveexec_b32 s16, s0
	s_cbranch_execz .LBB22_132
; %bb.134:                              ;   in Loop: Header=BB22_133 Depth=2
	v_dual_mov_b32 v27, v23 :: v_dual_add_nc_u32 v0, s10, v20
	v_dual_mov_b32 v28, v19 :: v_dual_add_nc_u32 v1, s10, v22
	s_cmp_lt_i32 s11, s14
	s_delay_alu instid0(VALU_DEP_2) | instskip(SKIP_1) | instid1(VALU_DEP_2)
	v_mul_lo_u32 v25, v0, s14
	s_cselect_b32 s17, -1, 0
	v_mul_lo_u32 v26, v1, s14
	s_mov_b32 s20, 0
	s_branch .LBB22_136
.LBB22_135:                             ;   in Loop: Header=BB22_136 Depth=3
	v_add_nc_u32_e32 v28, 32, v28
	v_add_nc_u32_e32 v27, 32, v27
	s_delay_alu instid0(VALU_DEP_2) | instskip(SKIP_1) | instid1(SALU_CYCLE_1)
	v_cmp_le_i32_e32 vcc_lo, s14, v28
	s_or_b32 s20, vcc_lo, s20
	s_and_not1_b32 exec_lo, exec_lo, s20
	s_cbranch_execz .LBB22_132
.LBB22_136:                             ;   Parent Loop BB22_130 Depth=1
                                        ;     Parent Loop BB22_133 Depth=2
                                        ; =>    This Loop Header: Depth=3
                                        ;         Child Loop BB22_140 Depth 4
	s_and_not1_b32 vcc_lo, exec_lo, s17
	s_cbranch_vccnz .LBB22_135
; %bb.137:                              ;   in Loop: Header=BB22_136 Depth=3
	v_add_nc_u32_e32 v0, v28, v22
	s_delay_alu instid0(VALU_DEP_2) | instskip(SKIP_2) | instid1(VALU_DEP_2)
	v_add_nc_u32_e32 v31, v28, v26
	s_mov_b32 s21, 0
	s_mov_b32 s22, s11
	v_mul_lo_u32 v29, v0, s14
	s_delay_alu instid0(VALU_DEP_1)
	v_add_nc_u32_e32 v30, s10, v29
	s_branch .LBB22_140
.LBB22_138:                             ;   in Loop: Header=BB22_140 Depth=4
	v_mov_b32_e32 v13, v14
.LBB22_139:                             ;   in Loop: Header=BB22_140 Depth=4
	s_waitcnt vmcnt(0)
	v_fma_f64 v[8:9], -v[0:1], v[4:5], v[8:9]
	v_fma_f64 v[4:5], -v[2:3], v[4:5], v[10:11]
	s_delay_alu instid0(VALU_DEP_3) | instskip(SKIP_3) | instid1(VALU_DEP_3)
	v_ashrrev_i32_e32 v14, 31, v13
	s_add_i32 s22, s22, 1
	s_add_i32 s21, s21, s14
	s_cmp_ge_i32 s22, s14
	v_fma_f64 v[2:3], v[2:3], v[6:7], v[8:9]
	s_delay_alu instid0(VALU_DEP_3) | instskip(SKIP_1) | instid1(VALU_DEP_1)
	v_fma_f64 v[4:5], -v[0:1], v[6:7], v[4:5]
	v_lshlrev_b64 v[0:1], 4, v[13:14]
	v_add_co_u32 v0, vcc_lo, s8, v0
	s_delay_alu instid0(VALU_DEP_2)
	v_add_co_ci_u32_e32 v1, vcc_lo, s9, v1, vcc_lo
	global_store_b128 v[0:1], v[2:5], off
	s_cbranch_scc1 .LBB22_135
.LBB22_140:                             ;   Parent Loop BB22_130 Depth=1
                                        ;     Parent Loop BB22_133 Depth=2
                                        ;       Parent Loop BB22_136 Depth=3
                                        ; =>      This Inner Loop Header: Depth=4
	s_and_b32 vcc_lo, exec_lo, s6
	s_cbranch_vccz .LBB22_148
; %bb.141:                              ;   in Loop: Header=BB22_140 Depth=4
	v_add_nc_u32_e32 v0, s22, v25
	v_mov_b32_e32 v2, v30
	s_cbranch_execnz .LBB22_143
.LBB22_142:                             ;   in Loop: Header=BB22_140 Depth=4
	v_add_nc_u32_e32 v0, s21, v24
	v_mov_b32_e32 v2, v31
.LBB22_143:                             ;   in Loop: Header=BB22_140 Depth=4
	s_delay_alu instid0(VALU_DEP_2) | instskip(NEXT) | instid1(VALU_DEP_2)
	v_ashrrev_i32_e32 v1, 31, v0
	v_ashrrev_i32_e32 v3, 31, v2
	v_add_nc_u32_e32 v13, s22, v29
	s_delay_alu instid0(VALU_DEP_3) | instskip(NEXT) | instid1(VALU_DEP_3)
	v_lshlrev_b64 v[0:1], 4, v[0:1]
	v_lshlrev_b64 v[2:3], 4, v[2:3]
	s_delay_alu instid0(VALU_DEP_2) | instskip(NEXT) | instid1(VALU_DEP_3)
	v_add_co_u32 v0, vcc_lo, s8, v0
	v_add_co_ci_u32_e32 v1, vcc_lo, s9, v1, vcc_lo
	s_delay_alu instid0(VALU_DEP_3) | instskip(NEXT) | instid1(VALU_DEP_4)
	v_add_co_u32 v4, vcc_lo, s8, v2
	v_add_co_ci_u32_e32 v5, vcc_lo, s9, v3, vcc_lo
	s_and_b32 vcc_lo, exec_lo, s6
	s_clause 0x1
	global_load_b128 v[0:3], v[0:1], off
	global_load_b128 v[4:7], v[4:5], off
	s_cbranch_vccz .LBB22_149
; %bb.144:                              ;   in Loop: Header=BB22_140 Depth=4
	v_add_nc_u32_e32 v8, s22, v29
	v_add_nc_u32_e32 v14, s21, v27
	s_cbranch_execnz .LBB22_146
.LBB22_145:                             ;   in Loop: Header=BB22_140 Depth=4
	v_add_nc_u32_e32 v8, s21, v27
.LBB22_146:                             ;   in Loop: Header=BB22_140 Depth=4
	s_delay_alu instid0(VALU_DEP_1) | instskip(NEXT) | instid1(VALU_DEP_1)
	v_ashrrev_i32_e32 v9, 31, v8
	v_lshlrev_b64 v[8:9], 4, v[8:9]
	s_delay_alu instid0(VALU_DEP_1) | instskip(NEXT) | instid1(VALU_DEP_2)
	v_add_co_u32 v8, vcc_lo, s8, v8
	v_add_co_ci_u32_e32 v9, vcc_lo, s9, v9, vcc_lo
	s_and_b32 vcc_lo, exec_lo, s6
	global_load_b128 v[8:11], v[8:9], off
	s_cbranch_vccz .LBB22_150
; %bb.147:                              ;   in Loop: Header=BB22_140 Depth=4
	s_cbranch_execnz .LBB22_139
	s_branch .LBB22_138
.LBB22_148:                             ;   in Loop: Header=BB22_140 Depth=4
                                        ; implicit-def: $vgpr0
	s_delay_alu instid0(VALU_DEP_1)
	v_mov_b32_e32 v2, v30
	s_branch .LBB22_142
.LBB22_149:                             ;   in Loop: Header=BB22_140 Depth=4
                                        ; implicit-def: $vgpr8
	v_add_nc_u32_e32 v14, s21, v27
	s_branch .LBB22_145
.LBB22_150:                             ;   in Loop: Header=BB22_140 Depth=4
                                        ; implicit-def: $vgpr13
	s_branch .LBB22_138
.LBB22_151:
	s_or_b32 exec_lo, exec_lo, s1
	s_delay_alu instid0(SALU_CYCLE_1)
	s_or_not1_b32 s0, s3, exec_lo
.LBB22_152:
	s_or_b32 exec_lo, exec_lo, s15
	v_cmp_eq_u32_e32 vcc_lo, 0, v19
	s_and_b32 exec_lo, exec_lo, vcc_lo
	s_cbranch_execz .LBB22_158
; %bb.153:
	v_add_co_u32 v0, vcc_lo, s12, v17
	v_add_co_ci_u32_e32 v1, vcc_lo, s13, v18, vcc_lo
	v_mov_b32_e32 v2, 1
	s_waitcnt_vscnt null, 0x0
	global_store_b32 v[0:1], v2, off
	s_and_b32 exec_lo, exec_lo, s0
	s_cbranch_execz .LBB22_158
; %bb.154:
	v_add_nc_u32_e32 v0, s24, v16
	s_mov_b32 s1, exec_lo
	s_brev_b32 s0, -2
.LBB22_155:                             ; =>This Inner Loop Header: Depth=1
	s_ctz_i32_b32 s2, s1
	s_delay_alu instid0(VALU_DEP_1) | instid1(SALU_CYCLE_1)
	v_readlane_b32 s3, v0, s2
	s_lshl_b32 s2, 1, s2
	s_delay_alu instid0(SALU_CYCLE_1) | instskip(NEXT) | instid1(VALU_DEP_1)
	s_and_not1_b32 s1, s1, s2
	s_min_i32 s0, s0, s3
	s_cmp_lg_u32 s1, 0
	s_cbranch_scc1 .LBB22_155
; %bb.156:
	v_mbcnt_lo_u32_b32 v0, exec_lo, 0
	s_mov_b32 s1, exec_lo
	s_delay_alu instid0(VALU_DEP_1)
	v_cmpx_eq_u32_e32 0, v0
	s_xor_b32 s1, exec_lo, s1
	s_cbranch_execz .LBB22_158
; %bb.157:
	v_dual_mov_b32 v0, 0 :: v_dual_mov_b32 v1, s0
	global_atomic_min_i32 v0, v1, s[18:19]
.LBB22_158:
	s_endpgm
	.section	.rodata,"a",@progbits
	.p2align	6, 0x0
	.amdhsa_kernel _ZN9rocsparseL15bsrilu0_generalILj128ELj32ELb0E21rocsparse_complex_numIdEEEv20rocsparse_direction_iPKiS5_PT2_S5_iPiS5_S8_21rocsparse_index_base_imNS_24const_host_device_scalarIfEENSA_IdEENSA_IS6_EEb
		.amdhsa_group_segment_fixed_size 1024
		.amdhsa_private_segment_fixed_size 40
		.amdhsa_kernarg_size 124
		.amdhsa_user_sgpr_count 15
		.amdhsa_user_sgpr_dispatch_ptr 1
		.amdhsa_user_sgpr_queue_ptr 0
		.amdhsa_user_sgpr_kernarg_segment_ptr 1
		.amdhsa_user_sgpr_dispatch_id 0
		.amdhsa_user_sgpr_private_segment_size 0
		.amdhsa_wavefront_size32 1
		.amdhsa_uses_dynamic_stack 0
		.amdhsa_enable_private_segment 1
		.amdhsa_system_sgpr_workgroup_id_x 1
		.amdhsa_system_sgpr_workgroup_id_y 0
		.amdhsa_system_sgpr_workgroup_id_z 0
		.amdhsa_system_sgpr_workgroup_info 0
		.amdhsa_system_vgpr_workitem_id 2
		.amdhsa_next_free_vgpr 48
		.amdhsa_next_free_sgpr 43
		.amdhsa_reserve_vcc 1
		.amdhsa_float_round_mode_32 0
		.amdhsa_float_round_mode_16_64 0
		.amdhsa_float_denorm_mode_32 3
		.amdhsa_float_denorm_mode_16_64 3
		.amdhsa_dx10_clamp 1
		.amdhsa_ieee_mode 1
		.amdhsa_fp16_overflow 0
		.amdhsa_workgroup_processor_mode 1
		.amdhsa_memory_ordered 1
		.amdhsa_forward_progress 0
		.amdhsa_shared_vgpr_count 0
		.amdhsa_exception_fp_ieee_invalid_op 0
		.amdhsa_exception_fp_denorm_src 0
		.amdhsa_exception_fp_ieee_div_zero 0
		.amdhsa_exception_fp_ieee_overflow 0
		.amdhsa_exception_fp_ieee_underflow 0
		.amdhsa_exception_fp_ieee_inexact 0
		.amdhsa_exception_int_div_zero 0
	.end_amdhsa_kernel
	.section	.text._ZN9rocsparseL15bsrilu0_generalILj128ELj32ELb0E21rocsparse_complex_numIdEEEv20rocsparse_direction_iPKiS5_PT2_S5_iPiS5_S8_21rocsparse_index_base_imNS_24const_host_device_scalarIfEENSA_IdEENSA_IS6_EEb,"axG",@progbits,_ZN9rocsparseL15bsrilu0_generalILj128ELj32ELb0E21rocsparse_complex_numIdEEEv20rocsparse_direction_iPKiS5_PT2_S5_iPiS5_S8_21rocsparse_index_base_imNS_24const_host_device_scalarIfEENSA_IdEENSA_IS6_EEb,comdat
.Lfunc_end22:
	.size	_ZN9rocsparseL15bsrilu0_generalILj128ELj32ELb0E21rocsparse_complex_numIdEEEv20rocsparse_direction_iPKiS5_PT2_S5_iPiS5_S8_21rocsparse_index_base_imNS_24const_host_device_scalarIfEENSA_IdEENSA_IS6_EEb, .Lfunc_end22-_ZN9rocsparseL15bsrilu0_generalILj128ELj32ELb0E21rocsparse_complex_numIdEEEv20rocsparse_direction_iPKiS5_PT2_S5_iPiS5_S8_21rocsparse_index_base_imNS_24const_host_device_scalarIfEENSA_IdEENSA_IS6_EEb
                                        ; -- End function
	.section	.AMDGPU.csdata,"",@progbits
; Kernel info:
; codeLenInByte = 5516
; NumSgprs: 45
; NumVgprs: 48
; ScratchSize: 40
; MemoryBound: 0
; FloatMode: 240
; IeeeMode: 1
; LDSByteSize: 1024 bytes/workgroup (compile time only)
; SGPRBlocks: 5
; VGPRBlocks: 5
; NumSGPRsForWavesPerEU: 45
; NumVGPRsForWavesPerEU: 48
; Occupancy: 16
; WaveLimiterHint : 1
; COMPUTE_PGM_RSRC2:SCRATCH_EN: 1
; COMPUTE_PGM_RSRC2:USER_SGPR: 15
; COMPUTE_PGM_RSRC2:TRAP_HANDLER: 0
; COMPUTE_PGM_RSRC2:TGID_X_EN: 1
; COMPUTE_PGM_RSRC2:TGID_Y_EN: 0
; COMPUTE_PGM_RSRC2:TGID_Z_EN: 0
; COMPUTE_PGM_RSRC2:TIDIG_COMP_CNT: 2
	.section	.text._ZN9rocsparseL11bsrilu0_2_8ILj64ELj64ELj8E21rocsparse_complex_numIdEEEv20rocsparse_direction_iPKiS5_PT2_S5_iPiS5_S8_21rocsparse_index_base_imNS_24const_host_device_scalarIfEENSA_IdEENSA_IS6_EEb,"axG",@progbits,_ZN9rocsparseL11bsrilu0_2_8ILj64ELj64ELj8E21rocsparse_complex_numIdEEEv20rocsparse_direction_iPKiS5_PT2_S5_iPiS5_S8_21rocsparse_index_base_imNS_24const_host_device_scalarIfEENSA_IdEENSA_IS6_EEb,comdat
	.globl	_ZN9rocsparseL11bsrilu0_2_8ILj64ELj64ELj8E21rocsparse_complex_numIdEEEv20rocsparse_direction_iPKiS5_PT2_S5_iPiS5_S8_21rocsparse_index_base_imNS_24const_host_device_scalarIfEENSA_IdEENSA_IS6_EEb ; -- Begin function _ZN9rocsparseL11bsrilu0_2_8ILj64ELj64ELj8E21rocsparse_complex_numIdEEEv20rocsparse_direction_iPKiS5_PT2_S5_iPiS5_S8_21rocsparse_index_base_imNS_24const_host_device_scalarIfEENSA_IdEENSA_IS6_EEb
	.p2align	8
	.type	_ZN9rocsparseL11bsrilu0_2_8ILj64ELj64ELj8E21rocsparse_complex_numIdEEEv20rocsparse_direction_iPKiS5_PT2_S5_iPiS5_S8_21rocsparse_index_base_imNS_24const_host_device_scalarIfEENSA_IdEENSA_IS6_EEb,@function
_ZN9rocsparseL11bsrilu0_2_8ILj64ELj64ELj8E21rocsparse_complex_numIdEEEv20rocsparse_direction_iPKiS5_PT2_S5_iPiS5_S8_21rocsparse_index_base_imNS_24const_host_device_scalarIfEENSA_IdEENSA_IS6_EEb: ; @_ZN9rocsparseL11bsrilu0_2_8ILj64ELj64ELj8E21rocsparse_complex_numIdEEEv20rocsparse_direction_iPKiS5_PT2_S5_iPiS5_S8_21rocsparse_index_base_imNS_24const_host_device_scalarIfEENSA_IdEENSA_IS6_EEb
; %bb.0:
	s_mov_b32 s24, s15
	s_load_b32 s8, s[2:3], 0x78
	s_load_b64 s[6:7], s[0:1], 0x4
	s_clause 0x1
	s_load_b64 s[20:21], s[2:3], 0x48
	s_load_b256 s[12:19], s[2:3], 0x50
	v_bfe_u32 v15, v0, 10, 10
	s_load_b64 s[4:5], s[2:3], 0x70
	v_and_b32_e32 v16, 0x3ff, v0
	v_bfe_u32 v2, v0, 20, 10
	s_waitcnt lgkmcnt(0)
	s_bitcmp1_b32 s8, 0
	v_mul_u32_u24_e32 v0, s7, v15
	s_cselect_b32 s0, -1, 0
	s_lshr_b32 s1, s6, 16
	s_cmp_lg_u32 s21, 0
	s_mul_i32 s6, s1, s7
	s_cselect_b32 s1, -1, 0
	v_mad_u32_u24 v3, s6, v16, v0
	s_cmp_eq_u32 s21, 0
	v_dual_mov_b32 v0, s18 :: v_dual_mov_b32 v1, s19
	s_cselect_b32 s9, -1, 0
	s_delay_alu instid0(VALU_DEP_2)
	v_add_lshl_u32 v6, v3, v2, 3
	s_and_b32 s6, s9, exec_lo
	s_cselect_b32 s6, 0, s16
	s_cselect_b32 s7, 0, s17
	s_or_b32 s10, s9, s0
	ds_store_b64 v6, v[0:1] offset:2304
	s_xor_b32 s8, s10, -1
	s_and_b32 vcc_lo, exec_lo, s10
	s_cbranch_vccnz .LBB23_2
; %bb.1:
	s_load_b32 s6, s[14:15], 0x0
	s_waitcnt lgkmcnt(0)
	v_mov_b32_e32 v21, s6
	s_mov_b64 s[6:7], s[16:17]
	s_delay_alu instid0(SALU_CYCLE_1)
	v_dual_mov_b32 v4, s6 :: v_dual_mov_b32 v5, s7
	s_and_not1_b32 vcc_lo, exec_lo, s8
	s_cbranch_vccz .LBB23_3
	s_branch .LBB23_4
.LBB23_2:
	v_cndmask_b32_e64 v21, s14, 0, s9
	v_dual_mov_b32 v4, s6 :: v_dual_mov_b32 v5, s7
	s_and_not1_b32 vcc_lo, exec_lo, s8
	s_cbranch_vccnz .LBB23_4
.LBB23_3:
	v_dual_mov_b32 v0, s16 :: v_dual_mov_b32 v1, s17
	flat_load_b64 v[4:5], v[0:1]
.LBB23_4:
	v_mov_b32_e32 v0, 0
	v_mov_b32_e32 v1, 0
	v_cndmask_b32_e64 v17, 0, 1, s1
	s_and_not1_b32 vcc_lo, exec_lo, s1
	s_delay_alu instid0(VALU_DEP_2)
	v_dual_mov_b32 v3, v1 :: v_dual_mov_b32 v2, v0
	s_cbranch_vccnz .LBB23_7
; %bb.5:
	s_mov_b64 s[6:7], src_shared_base
	s_xor_b32 s1, s0, -1
	s_and_b32 s6, s0, exec_lo
	s_cselect_b32 s6, s7, s19
	s_delay_alu instid0(SALU_CYCLE_1) | instskip(SKIP_2) | instid1(VALU_DEP_2)
	v_dual_mov_b32 v1, s6 :: v_dual_add_nc_u32 v0, 0x900, v6
	v_dual_mov_b32 v2, s4 :: v_dual_mov_b32 v3, s5
	s_and_not1_b32 vcc_lo, exec_lo, s1
	v_cndmask_b32_e64 v0, s18, v0, s0
	flat_load_b64 v[0:1], v[0:1]
	s_cbranch_vccnz .LBB23_7
; %bb.6:
	v_dual_mov_b32 v2, s18 :: v_dual_mov_b32 v3, s19
	flat_load_b64 v[2:3], v[2:3] offset:8
.LBB23_7:
	s_clause 0x1
	s_load_b128 s[16:19], s[2:3], 0x30
	s_load_b64 s[14:15], s[2:3], 0x40
	s_mov_b32 s25, 0
	s_delay_alu instid0(SALU_CYCLE_1)
	s_lshl_b64 s[0:1], s[24:25], 2
	s_waitcnt lgkmcnt(0)
	s_add_u32 s0, s18, s0
	s_addc_u32 s1, s19, s1
	s_load_b32 s18, s[0:1], 0x0
	s_load_b256 s[4:11], s[2:3], 0x8
	s_waitcnt vmcnt(0)
	scratch_store_b128 off, v[0:3], off
	s_waitcnt lgkmcnt(0)
	s_ashr_i32 s19, s18, 31
	s_delay_alu instid0(SALU_CYCLE_1) | instskip(NEXT) | instid1(SALU_CYCLE_1)
	s_lshl_b64 s[22:23], s[18:19], 2
	s_add_u32 s0, s10, s22
	s_addc_u32 s1, s11, s23
	s_load_b32 s26, s[0:1], 0x0
	s_waitcnt lgkmcnt(0)
	s_cmp_eq_u32 s26, -1
	s_cbranch_scc1 .LBB23_75
; %bb.8:
	s_add_u32 s0, s4, s22
	s_addc_u32 s1, s5, s23
	v_max_u32_e32 v18, v16, v15
	s_load_b64 s[0:1], s[0:1], 0x0
	s_clause 0x1
	s_load_b32 s19, s[2:3], 0x28
	s_load_b64 s[28:29], s[2:3], 0x0
	v_lshlrev_b32_e32 v19, 4, v16
	v_mul_u32_u24_e32 v20, 0x90, v15
	s_waitcnt lgkmcnt(0)
	s_sub_i32 s30, s0, s20
	v_cmp_gt_u32_e64 s0, s19, v18
	s_sub_i32 s21, s1, s20
	s_cmp_ge_i32 s30, s26
	s_cbranch_scc1 .LBB23_48
; %bb.9:
	s_cmp_eq_u32 s28, 0
	v_add_nc_u32_e32 v22, 0x480, v19
	v_mul_u32_u24_e32 v0, 9, v15
	s_cselect_b32 vcc_lo, -1, 0
	s_cmp_gt_i32 s19, 0
	v_mad_u32_u24 v24, 0x90, v15, v19
	s_cselect_b32 s24, -1, 0
	s_add_u32 s34, s2, 0x80
	s_addc_u32 s35, s3, 0
	s_add_i32 s27, s29, 1
	v_mad_u32_u24 v23, 0x90, v15, v22
	v_cmp_eq_u32_e64 s1, 0, v15
	v_dual_mov_b32 v28, 0 :: v_dual_add_nc_u32 v25, s30, v16
	v_dual_cndmask_b32 v6, v15, v16 :: v_dual_cndmask_b32 v7, v16, v15
	s_add_u32 s29, s4, 4
	v_add_nc_u32_e32 v26, 1, v15
	v_lshlrev_b32_e32 v27, 4, v0
	s_addc_u32 s33, s5, 0
	s_add_u32 s36, s6, 0x100
	s_addc_u32 s37, s7, 0
	s_branch .LBB23_12
.LBB23_10:                              ;   in Loop: Header=BB23_12 Depth=1
	s_mov_b32 s25, -1
.LBB23_11:                              ;   in Loop: Header=BB23_12 Depth=1
	s_add_i32 s30, s30, 1
	s_delay_alu instid0(SALU_CYCLE_1) | instskip(SKIP_1) | instid1(SALU_CYCLE_1)
	s_cmp_lt_i32 s30, s26
	s_cselect_b32 s3, -1, 0
	s_and_b32 s2, s2, s3
	s_delay_alu instid0(SALU_CYCLE_1)
	s_and_b32 vcc_lo, exec_lo, s2
	s_cbranch_vccz .LBB23_48
.LBB23_12:                              ; =>This Loop Header: Depth=1
                                        ;     Child Loop BB23_16 Depth 2
                                        ;     Child Loop BB23_22 Depth 2
	;; [unrolled: 1-line block ×3, first 2 shown]
                                        ;       Child Loop BB23_37 Depth 3
                                        ;       Child Loop BB23_45 Depth 3
	s_ashr_i32 s31, s30, 31
	v_mov_b32_e32 v0, 0
	s_lshl_b64 s[2:3], s[30:31], 2
	v_mov_b32_e32 v1, 0
	s_add_u32 s2, s6, s2
	s_addc_u32 s3, s7, s3
	global_load_b32 v2, v28, s[2:3]
	s_waitcnt vmcnt(0)
	v_readfirstlane_b32 s2, v2
	v_dual_mov_b32 v3, v1 :: v_dual_mov_b32 v2, v0
	s_and_saveexec_b32 s3, s0
	s_cbranch_execz .LBB23_14
; %bb.13:                               ;   in Loop: Header=BB23_12 Depth=1
	v_mad_u64_u32 v[0:1], null, s30, s19, v[6:7]
	s_delay_alu instid0(VALU_DEP_1) | instskip(SKIP_1) | instid1(VALU_DEP_1)
	v_mad_u64_u32 v[1:2], null, v0, s19, v[7:8]
	v_mov_b32_e32 v2, v28
	v_lshlrev_b64 v[0:1], 4, v[1:2]
	s_delay_alu instid0(VALU_DEP_1) | instskip(NEXT) | instid1(VALU_DEP_2)
	v_add_co_u32 v0, vcc_lo, s8, v0
	v_add_co_ci_u32_e32 v1, vcc_lo, s9, v1, vcc_lo
	global_load_b128 v[0:3], v[0:1], off
.LBB23_14:                              ;   in Loop: Header=BB23_12 Depth=1
	s_or_b32 exec_lo, exec_lo, s3
	s_sub_i32 s2, s2, s20
	s_waitcnt vmcnt(0)
	ds_store_b128 v23, v[0:3]
	s_ashr_i32 s3, s2, 31
	s_delay_alu instid0(SALU_CYCLE_1) | instskip(NEXT) | instid1(SALU_CYCLE_1)
	s_lshl_b64 s[4:5], s[2:3], 2
	s_add_u32 s2, s10, s4
	s_addc_u32 s3, s11, s5
	global_load_b32 v8, v28, s[2:3]
	s_waitcnt vmcnt(0)
	v_cmp_eq_u32_e32 vcc_lo, -1, v8
	v_readfirstlane_b32 s3, v8
	v_cmp_ne_u32_e64 s2, -1, v8
	s_cbranch_vccnz .LBB23_10
; %bb.15:                               ;   in Loop: Header=BB23_12 Depth=1
	s_add_u32 s38, s29, s4
	s_addc_u32 s39, s33, s5
	s_add_u32 s4, s16, s4
	global_load_b32 v0, v28, s[38:39]
	s_addc_u32 s5, s17, s5
	s_waitcnt vmcnt(0)
	v_readfirstlane_b32 s31, v0
.LBB23_16:                              ;   Parent Loop BB23_12 Depth=1
                                        ; =>  This Inner Loop Header: Depth=2
	global_load_b32 v0, v28, s[4:5] glc
	s_waitcnt vmcnt(0)
	v_cmp_eq_u32_e32 vcc_lo, 0, v0
	s_cbranch_vccnz .LBB23_16
; %bb.17:                               ;   in Loop: Header=BB23_12 Depth=1
	v_mov_b32_e32 v0, 0
	v_mov_b32_e32 v1, 0
	s_waitcnt lgkmcnt(0)
	s_waitcnt_vscnt null, 0x0
	buffer_gl1_inv
	buffer_gl0_inv
	v_dual_mov_b32 v3, v1 :: v_dual_mov_b32 v2, v0
	s_and_saveexec_b32 s4, s0
	s_cbranch_execz .LBB23_19
; %bb.18:                               ;   in Loop: Header=BB23_12 Depth=1
	v_mad_u64_u32 v[0:1], null, s3, s19, v[6:7]
	s_delay_alu instid0(VALU_DEP_1) | instskip(SKIP_1) | instid1(VALU_DEP_1)
	v_mad_u64_u32 v[1:2], null, v0, s19, v[7:8]
	v_mov_b32_e32 v2, v28
	v_lshlrev_b64 v[0:1], 4, v[1:2]
	s_delay_alu instid0(VALU_DEP_1) | instskip(NEXT) | instid1(VALU_DEP_2)
	v_add_co_u32 v0, vcc_lo, s8, v0
	v_add_co_ci_u32_e32 v1, vcc_lo, s9, v1, vcc_lo
	global_load_b128 v[0:3], v[0:1], off
.LBB23_19:                              ;   in Loop: Header=BB23_12 Depth=1
	s_or_b32 exec_lo, exec_lo, s4
	s_delay_alu instid0(SALU_CYCLE_1)
	s_and_not1_b32 vcc_lo, exec_lo, s24
	s_waitcnt vmcnt(0)
	ds_store_b128 v24, v[0:3]
	s_waitcnt lgkmcnt(0)
	buffer_gl0_inv
	s_cbranch_vccnz .LBB23_26
; %bb.20:                               ;   in Loop: Header=BB23_12 Depth=1
	v_mov_b32_e32 v8, v22
	v_mov_b32_e32 v9, v26
	s_mov_b32 s4, 0
	s_mov_b32 s5, s19
	s_branch .LBB23_22
.LBB23_21:                              ;   in Loop: Header=BB23_22 Depth=2
	s_or_b32 exec_lo, exec_lo, s38
	v_add_nc_u32_e32 v9, 1, v9
	v_add_nc_u32_e32 v8, 0x90, v8
	s_add_i32 s5, s5, -1
	s_addk_i32 s4, 0xa0
	s_cmp_eq_u32 s5, 0
	s_waitcnt lgkmcnt(0)
	buffer_gl0_inv
	s_cbranch_scc1 .LBB23_26
.LBB23_22:                              ;   Parent Loop BB23_12 Depth=1
                                        ; =>  This Inner Loop Header: Depth=2
	v_mov_b32_e32 v0, s4
	ds_load_b128 v[0:3], v0
	s_waitcnt lgkmcnt(0)
	v_mul_f64 v[10:11], v[2:3], v[2:3]
	s_delay_alu instid0(VALU_DEP_1) | instskip(NEXT) | instid1(VALU_DEP_1)
	v_fma_f64 v[29:30], v[0:1], v[0:1], v[10:11]
	v_div_scale_f64 v[10:11], null, v[29:30], v[29:30], 1.0
	v_div_scale_f64 v[33:34], vcc_lo, 1.0, v[29:30], 1.0
	s_delay_alu instid0(VALU_DEP_2) | instskip(SKIP_2) | instid1(VALU_DEP_1)
	v_rcp_f64_e32 v[12:13], v[10:11]
	s_waitcnt_depctr 0xfff
	v_fma_f64 v[31:32], -v[10:11], v[12:13], 1.0
	v_fma_f64 v[12:13], v[12:13], v[31:32], v[12:13]
	s_delay_alu instid0(VALU_DEP_1) | instskip(NEXT) | instid1(VALU_DEP_1)
	v_fma_f64 v[31:32], -v[10:11], v[12:13], 1.0
	v_fma_f64 v[31:32], v[12:13], v[31:32], v[12:13]
	s_delay_alu instid0(VALU_DEP_1) | instskip(NEXT) | instid1(VALU_DEP_1)
	v_mul_f64 v[35:36], v[33:34], v[31:32]
	v_fma_f64 v[33:34], -v[10:11], v[35:36], v[33:34]
	ds_load_b128 v[10:13], v8
	s_waitcnt lgkmcnt(0)
	buffer_gl0_inv
	v_mul_f64 v[37:38], v[2:3], v[12:13]
	v_mul_f64 v[2:3], v[2:3], -v[10:11]
	v_div_fmas_f64 v[31:32], v[33:34], v[31:32], v[35:36]
	s_delay_alu instid0(VALU_DEP_3) | instskip(NEXT) | instid1(VALU_DEP_3)
	v_fma_f64 v[10:11], v[10:11], v[0:1], v[37:38]
	v_fma_f64 v[2:3], v[12:13], v[0:1], v[2:3]
	s_delay_alu instid0(VALU_DEP_3) | instskip(NEXT) | instid1(VALU_DEP_1)
	v_div_fixup_f64 v[29:30], v[31:32], v[29:30], 1.0
	v_mul_f64 v[0:1], v[29:30], v[10:11]
	s_delay_alu instid0(VALU_DEP_3)
	v_mul_f64 v[2:3], v[29:30], v[2:3]
	s_and_saveexec_b32 s38, s1
	s_cbranch_execz .LBB23_24
; %bb.23:                               ;   in Loop: Header=BB23_22 Depth=2
	ds_store_b128 v8, v[0:3]
.LBB23_24:                              ;   in Loop: Header=BB23_22 Depth=2
	s_or_b32 exec_lo, exec_lo, s38
	s_delay_alu instid0(SALU_CYCLE_1)
	s_mov_b32 s38, exec_lo
	v_cmpx_gt_i32_e64 s19, v9
	s_cbranch_execz .LBB23_21
; %bb.25:                               ;   in Loop: Header=BB23_22 Depth=2
	v_add_nc_u32_e32 v10, s4, v27
	v_add_nc_u32_e32 v14, v8, v27
	ds_load_b128 v[10:13], v10 offset:144
	ds_load_b128 v[29:32], v14 offset:144
	s_waitcnt lgkmcnt(0)
	v_fma_f64 v[29:30], -v[0:1], v[10:11], v[29:30]
	v_fma_f64 v[31:32], -v[2:3], v[10:11], v[31:32]
	s_delay_alu instid0(VALU_DEP_2) | instskip(NEXT) | instid1(VALU_DEP_2)
	v_fma_f64 v[10:11], v[2:3], v[12:13], v[29:30]
	v_fma_f64 v[12:13], -v[0:1], v[12:13], v[31:32]
	ds_store_b128 v14, v[10:13] offset:144
	s_branch .LBB23_21
.LBB23_26:                              ;   in Loop: Header=BB23_12 Depth=1
	s_and_saveexec_b32 s4, s0
	s_cbranch_execz .LBB23_28
; %bb.27:                               ;   in Loop: Header=BB23_12 Depth=1
	v_mad_u64_u32 v[0:1], null, s30, s19, v[6:7]
	s_delay_alu instid0(VALU_DEP_1) | instskip(SKIP_2) | instid1(VALU_DEP_1)
	v_mad_u64_u32 v[8:9], null, v0, s19, v[7:8]
	ds_load_2addr_b64 v[0:3], v23 offset1:1
	v_mov_b32_e32 v9, v28
	v_lshlrev_b64 v[8:9], 4, v[8:9]
	s_delay_alu instid0(VALU_DEP_1) | instskip(NEXT) | instid1(VALU_DEP_2)
	v_add_co_u32 v8, vcc_lo, s8, v8
	v_add_co_ci_u32_e32 v9, vcc_lo, s9, v9, vcc_lo
	s_waitcnt lgkmcnt(0)
	global_store_b128 v[8:9], v[0:3], off
.LBB23_28:                              ;   in Loop: Header=BB23_12 Depth=1
	s_or_b32 exec_lo, exec_lo, s4
	s_sub_i32 s31, s31, s20
	s_add_i32 s4, s3, 1
	s_delay_alu instid0(SALU_CYCLE_1)
	s_cmp_ge_i32 s4, s31
	s_cbranch_scc1 .LBB23_11
; %bb.29:                               ;   in Loop: Header=BB23_12 Depth=1
	s_load_b32 s3, s[34:35], 0xc
	s_waitcnt lgkmcnt(0)
	s_and_b32 s3, s3, 0xffff
	s_delay_alu instid0(SALU_CYCLE_1) | instskip(NEXT) | instid1(VALU_DEP_1)
	v_mad_u32_u24 v8, v15, s3, v25
	v_ashrrev_i32_e32 v9, 31, v8
	v_cmp_gt_i32_e64 s3, s21, v8
	s_delay_alu instid0(VALU_DEP_2) | instskip(NEXT) | instid1(VALU_DEP_1)
	v_lshlrev_b64 v[0:1], 2, v[8:9]
	v_add_co_u32 v9, vcc_lo, s6, v0
	s_delay_alu instid0(VALU_DEP_2)
	v_add_co_ci_u32_e32 v10, vcc_lo, s7, v1, vcc_lo
	s_branch .LBB23_32
.LBB23_30:                              ;   in Loop: Header=BB23_32 Depth=2
	s_or_b32 exec_lo, exec_lo, s5
.LBB23_31:                              ;   in Loop: Header=BB23_32 Depth=2
	s_add_i32 s4, s4, 1
	s_waitcnt_vscnt null, 0x0
	buffer_gl0_inv
	s_cmp_lt_i32 s4, s31
	s_cbranch_scc0 .LBB23_11
.LBB23_32:                              ;   Parent Loop BB23_12 Depth=1
                                        ; =>  This Loop Header: Depth=2
                                        ;       Child Loop BB23_37 Depth 3
                                        ;       Child Loop BB23_45 Depth 3
	s_ashr_i32 s5, s4, 31
	v_mov_b32_e32 v1, s27
	s_lshl_b64 s[38:39], s[4:5], 2
	s_delay_alu instid0(SALU_CYCLE_1)
	s_add_u32 s38, s6, s38
	s_addc_u32 s39, s7, s39
	global_load_b32 v0, v28, s[38:39]
	s_and_saveexec_b32 s5, s3
	s_cbranch_execz .LBB23_34
; %bb.33:                               ;   in Loop: Header=BB23_32 Depth=2
	global_load_b32 v1, v[9:10], off
	s_waitcnt vmcnt(0)
	v_subrev_nc_u32_e32 v1, s20, v1
.LBB23_34:                              ;   in Loop: Header=BB23_32 Depth=2
	s_or_b32 exec_lo, exec_lo, s5
	s_waitcnt vmcnt(0)
	v_subrev_nc_u32_e32 v2, s20, v0
	v_mov_b32_e32 v3, v8
	s_mov_b32 s5, exec_lo
	s_delay_alu instid0(VALU_DEP_2)
	v_cmpx_lt_i32_e64 v1, v2
	s_cbranch_execz .LBB23_40
; %bb.35:                               ;   in Loop: Header=BB23_32 Depth=2
	v_mov_b32_e32 v0, v8
	s_mov_b32 s38, 0
	s_branch .LBB23_37
	.p2align	6
.LBB23_36:                              ;   in Loop: Header=BB23_37 Depth=3
	s_or_b32 exec_lo, exec_lo, s39
	s_delay_alu instid0(VALU_DEP_1) | instskip(SKIP_2) | instid1(SALU_CYCLE_1)
	v_cmp_ge_i32_e32 vcc_lo, v1, v2
	v_mov_b32_e32 v0, v3
	s_or_b32 s38, vcc_lo, s38
	s_and_not1_b32 exec_lo, exec_lo, s38
	s_cbranch_execz .LBB23_39
.LBB23_37:                              ;   Parent Loop BB23_12 Depth=1
                                        ;     Parent Loop BB23_32 Depth=2
                                        ; =>    This Inner Loop Header: Depth=3
	s_delay_alu instid0(VALU_DEP_1) | instskip(SKIP_2) | instid1(VALU_DEP_2)
	v_add_nc_u32_e32 v3, 64, v0
	v_mov_b32_e32 v1, s27
	s_mov_b32 s39, exec_lo
	v_cmpx_gt_i32_e64 s21, v3
	s_cbranch_execz .LBB23_36
; %bb.38:                               ;   in Loop: Header=BB23_37 Depth=3
	v_ashrrev_i32_e32 v1, 31, v0
	s_delay_alu instid0(VALU_DEP_1) | instskip(NEXT) | instid1(VALU_DEP_1)
	v_lshlrev_b64 v[0:1], 2, v[0:1]
	v_add_co_u32 v0, vcc_lo, s36, v0
	s_delay_alu instid0(VALU_DEP_2)
	v_add_co_ci_u32_e32 v1, vcc_lo, s37, v1, vcc_lo
	global_load_b32 v0, v[0:1], off
	s_waitcnt vmcnt(0)
	v_subrev_nc_u32_e32 v1, s20, v0
	s_branch .LBB23_36
.LBB23_39:                              ;   in Loop: Header=BB23_32 Depth=2
	s_or_b32 exec_lo, exec_lo, s38
.LBB23_40:                              ;   in Loop: Header=BB23_32 Depth=2
	s_delay_alu instid0(SALU_CYCLE_1)
	s_or_b32 exec_lo, exec_lo, s5
	v_cmp_eq_u32_e32 vcc_lo, v1, v2
	s_cbranch_vccz .LBB23_31
; %bb.41:                               ;   in Loop: Header=BB23_32 Depth=2
	s_ctz_i32_b32 s5, vcc_lo
	v_mov_b32_e32 v11, 0
	s_lshl_b32 s5, s5, 2
	v_mov_b32_e32 v12, 0
	v_mov_b32_e32 v0, s5
	ds_bpermute_b32 v29, v0, v3
	v_dual_mov_b32 v2, v11 :: v_dual_mov_b32 v3, v12
	v_dual_mov_b32 v0, v11 :: v_dual_mov_b32 v1, v12
	s_and_saveexec_b32 s5, s0
	s_cbranch_execz .LBB23_43
; %bb.42:                               ;   in Loop: Header=BB23_32 Depth=2
	v_mad_u64_u32 v[0:1], null, s4, s19, v[6:7]
	s_delay_alu instid0(VALU_DEP_1) | instskip(SKIP_1) | instid1(VALU_DEP_1)
	v_mad_u64_u32 v[1:2], null, v0, s19, v[7:8]
	v_mov_b32_e32 v2, v28
	v_lshlrev_b64 v[0:1], 4, v[1:2]
	s_delay_alu instid0(VALU_DEP_1) | instskip(NEXT) | instid1(VALU_DEP_2)
	v_add_co_u32 v0, vcc_lo, s8, v0
	v_add_co_ci_u32_e32 v1, vcc_lo, s9, v1, vcc_lo
	global_load_b128 v[0:3], v[0:1], off
.LBB23_43:                              ;   in Loop: Header=BB23_32 Depth=2
	s_or_b32 exec_lo, exec_lo, s5
	v_dual_mov_b32 v14, v12 :: v_dual_mov_b32 v13, v11
	s_and_not1_b32 vcc_lo, exec_lo, s24
	s_waitcnt vmcnt(0)
	ds_store_b128 v24, v[0:3]
	s_waitcnt lgkmcnt(0)
	s_waitcnt_vscnt null, 0x0
	buffer_gl0_inv
	s_cbranch_vccnz .LBB23_46
; %bb.44:                               ;   in Loop: Header=BB23_32 Depth=2
	v_dual_mov_b32 v11, 0 :: v_dual_mov_b32 v0, v22
	v_dual_mov_b32 v12, 0 :: v_dual_mov_b32 v1, v20
	s_mov_b32 s5, s19
	s_delay_alu instid0(VALU_DEP_1)
	v_dual_mov_b32 v14, v12 :: v_dual_mov_b32 v13, v11
	.p2align	6
.LBB23_45:                              ;   Parent Loop BB23_12 Depth=1
                                        ;     Parent Loop BB23_32 Depth=2
                                        ; =>    This Inner Loop Header: Depth=3
	ds_load_b128 v[30:33], v0
	ds_load_b128 v[34:37], v1
	v_add_nc_u32_e32 v1, 16, v1
	v_add_nc_u32_e32 v0, 0x90, v0
	s_add_i32 s5, s5, -1
	s_delay_alu instid0(SALU_CYCLE_1) | instskip(SKIP_3) | instid1(VALU_DEP_2)
	s_cmp_eq_u32 s5, 0
	s_waitcnt lgkmcnt(0)
	v_fma_f64 v[2:3], v[30:31], v[34:35], v[11:12]
	v_fma_f64 v[13:14], v[32:33], v[34:35], v[13:14]
	v_fma_f64 v[11:12], -v[32:33], v[36:37], v[2:3]
	s_delay_alu instid0(VALU_DEP_2)
	v_fma_f64 v[13:14], v[30:31], v[36:37], v[13:14]
	s_cbranch_scc0 .LBB23_45
.LBB23_46:                              ;   in Loop: Header=BB23_32 Depth=2
	s_and_saveexec_b32 s5, s0
	s_cbranch_execz .LBB23_30
; %bb.47:                               ;   in Loop: Header=BB23_32 Depth=2
	v_mad_u64_u32 v[0:1], null, v29, s19, v[6:7]
	s_delay_alu instid0(VALU_DEP_1) | instskip(SKIP_1) | instid1(VALU_DEP_1)
	v_mad_u64_u32 v[1:2], null, v0, s19, v[7:8]
	v_mov_b32_e32 v2, v28
	v_lshlrev_b64 v[0:1], 4, v[1:2]
	s_delay_alu instid0(VALU_DEP_1) | instskip(NEXT) | instid1(VALU_DEP_2)
	v_add_co_u32 v29, vcc_lo, s8, v0
	v_add_co_ci_u32_e32 v30, vcc_lo, s9, v1, vcc_lo
	global_load_b128 v[0:3], v[29:30], off
	s_waitcnt vmcnt(0)
	v_add_f64 v[0:1], v[0:1], -v[11:12]
	v_add_f64 v[2:3], v[2:3], -v[13:14]
	global_store_b128 v[29:30], v[0:3], off
	s_branch .LBB23_30
.LBB23_48:
	s_ashr_i32 s27, s26, 31
	v_mov_b32_e32 v0, 0
	s_lshl_b64 s[0:1], s[26:27], 2
	s_delay_alu instid0(SALU_CYCLE_1) | instskip(SKIP_4) | instid1(VALU_DEP_1)
	s_add_u32 s0, s6, s0
	s_addc_u32 s1, s7, s1
	global_load_b32 v0, v0, s[0:1]
	s_waitcnt vmcnt(0)
	v_subrev_nc_u32_e32 v0, s20, v0
	v_cmp_ne_u32_e32 vcc_lo, s18, v0
	s_cbranch_vccnz .LBB23_76
; %bb.49:
	v_mov_b32_e32 v2, 0
	v_mov_b32_e32 v3, 0
	v_cmp_gt_u32_e64 s0, s19, v18
	s_delay_alu instid0(VALU_DEP_2) | instskip(NEXT) | instid1(VALU_DEP_2)
	v_dual_mov_b32 v0, v2 :: v_dual_mov_b32 v1, v3
	s_and_saveexec_b32 s1, s0
	s_cbranch_execz .LBB23_51
; %bb.50:
	s_cmp_eq_u32 s28, 0
	s_cselect_b32 vcc_lo, -1, 0
	v_cndmask_b32_e32 v0, v15, v16, vcc_lo
	s_delay_alu instid0(VALU_DEP_1) | instskip(SKIP_1) | instid1(VALU_DEP_1)
	v_mad_u64_u32 v[1:2], null, s26, s19, v[0:1]
	v_cndmask_b32_e32 v0, v16, v15, vcc_lo
	v_mad_u64_u32 v[2:3], null, v1, s19, v[0:1]
	v_mov_b32_e32 v3, 0
	s_delay_alu instid0(VALU_DEP_1) | instskip(NEXT) | instid1(VALU_DEP_1)
	v_lshlrev_b64 v[0:1], 4, v[2:3]
	v_add_co_u32 v0, vcc_lo, s8, v0
	s_delay_alu instid0(VALU_DEP_2)
	v_add_co_ci_u32_e32 v1, vcc_lo, s9, v1, vcc_lo
	global_load_b128 v[0:3], v[0:1], off
.LBB23_51:
	s_or_b32 exec_lo, exec_lo, s1
	v_mad_u32_u24 v12, 0x90, v15, v19
	s_cmp_lt_i32 s19, 1
	s_waitcnt vmcnt(0)
	ds_store_b128 v12, v[0:3]
	s_waitcnt lgkmcnt(0)
	s_waitcnt_vscnt null, 0x0
	buffer_gl0_inv
	s_cbranch_scc1 .LBB23_108
; %bb.52:
	v_cvt_f64_f32_e32 v[0:1], v21
	v_or_b32_e32 v2, v16, v15
	v_mul_u32_u24_e32 v3, 9, v15
	s_cmp_eq_u64 s[12:13], 8
	v_cmp_eq_u32_e64 s1, 0, v15
	s_cselect_b32 vcc_lo, -1, 0
	v_dual_mov_b32 v14, 0 :: v_dual_mov_b32 v13, 16
	v_cmp_eq_u32_e64 s2, 0, v2
	v_lshlrev_b32_e32 v21, 4, v3
	s_mov_b32 s5, 0
                                        ; implicit-def: $sgpr4
	v_dual_cndmask_b32 v5, v1, v5 :: v_dual_cndmask_b32 v4, v0, v4
	s_branch .LBB23_54
.LBB23_53:                              ;   in Loop: Header=BB23_54 Depth=1
	s_or_b32 exec_lo, exec_lo, s6
	s_delay_alu instid0(VALU_DEP_1) | instskip(SKIP_3) | instid1(SALU_CYCLE_1)
	v_cmp_eq_u32_e32 vcc_lo, s19, v14
	s_or_b32 s5, vcc_lo, s5
	s_and_not1_b32 s3, s4, exec_lo
	s_and_b32 s4, s25, exec_lo
	s_or_b32 s4, s3, s4
	s_and_not1_b32 exec_lo, exec_lo, s5
	s_cbranch_execz .LBB23_77
.LBB23_54:                              ; =>This Inner Loop Header: Depth=1
	v_mul_lo_u32 v0, 0x90, v14
	v_cmp_ne_u32_e32 vcc_lo, 1, v17
	s_mov_b32 s3, -1
	s_mov_b32 s6, 0
	s_and_b32 vcc_lo, exec_lo, vcc_lo
	s_delay_alu instid0(VALU_DEP_2)
	v_lshl_add_u32 v22, v14, 4, v0
	ds_load_2addr_b64 v[0:3], v22 offset1:1
	s_waitcnt lgkmcnt(0)
	scratch_store_b128 off, v[0:3], off offset:16
	s_cbranch_vccz .LBB23_58
; %bb.55:                               ;   in Loop: Header=BB23_54 Depth=1
	s_and_b32 vcc_lo, exec_lo, s3
	s_mov_b32 s3, 0
	s_cbranch_vccnz .LBB23_67
.LBB23_56:                              ;   in Loop: Header=BB23_54 Depth=1
	v_add_nc_u32_e32 v6, 1, v14
	s_and_saveexec_b32 s7, s6
	s_delay_alu instid0(SALU_CYCLE_1)
	s_xor_b32 s6, exec_lo, s7
	s_cbranch_execnz .LBB23_68
.LBB23_57:                              ;   in Loop: Header=BB23_54 Depth=1
	s_or_b32 exec_lo, exec_lo, s6
	s_and_saveexec_b32 s6, s3
	s_cbranch_execz .LBB23_53
	s_branch .LBB23_74
.LBB23_58:                              ;   in Loop: Header=BB23_54 Depth=1
	v_cmp_gt_f64_e32 vcc_lo, 0, v[0:1]
	v_cmp_gt_f64_e64 s3, 0, v[2:3]
	v_xor_b32_e32 v6, 0x80000000, v1
	v_xor_b32_e32 v8, 0x80000000, v3
                                        ; implicit-def: $vgpr10_vgpr11
	s_delay_alu instid0(VALU_DEP_2) | instskip(NEXT) | instid1(VALU_DEP_2)
	v_dual_cndmask_b32 v7, v1, v6 :: v_dual_cndmask_b32 v6, v0, v0
	v_cndmask_b32_e64 v9, v3, v8, s3
	v_cndmask_b32_e64 v8, v2, v2, s3
	s_mov_b32 s3, exec_lo
	s_delay_alu instid0(VALU_DEP_1)
	v_cmpx_ngt_f64_e32 v[6:7], v[8:9]
	s_xor_b32 s3, exec_lo, s3
	s_cbranch_execz .LBB23_62
; %bb.59:                               ;   in Loop: Header=BB23_54 Depth=1
	v_mov_b32_e32 v10, 0
	v_mov_b32_e32 v11, 0
	s_mov_b32 s6, exec_lo
	v_cmpx_neq_f64_e32 0, v[2:3]
	s_cbranch_execz .LBB23_61
; %bb.60:                               ;   in Loop: Header=BB23_54 Depth=1
	v_div_scale_f64 v[10:11], null, v[8:9], v[8:9], v[6:7]
	v_div_scale_f64 v[27:28], vcc_lo, v[6:7], v[8:9], v[6:7]
	s_delay_alu instid0(VALU_DEP_2) | instskip(SKIP_2) | instid1(VALU_DEP_1)
	v_rcp_f64_e32 v[23:24], v[10:11]
	s_waitcnt_depctr 0xfff
	v_fma_f64 v[25:26], -v[10:11], v[23:24], 1.0
	v_fma_f64 v[23:24], v[23:24], v[25:26], v[23:24]
	s_delay_alu instid0(VALU_DEP_1) | instskip(NEXT) | instid1(VALU_DEP_1)
	v_fma_f64 v[25:26], -v[10:11], v[23:24], 1.0
	v_fma_f64 v[23:24], v[23:24], v[25:26], v[23:24]
	s_delay_alu instid0(VALU_DEP_1) | instskip(NEXT) | instid1(VALU_DEP_1)
	v_mul_f64 v[25:26], v[27:28], v[23:24]
	v_fma_f64 v[10:11], -v[10:11], v[25:26], v[27:28]
	s_delay_alu instid0(VALU_DEP_1) | instskip(NEXT) | instid1(VALU_DEP_1)
	v_div_fmas_f64 v[10:11], v[10:11], v[23:24], v[25:26]
	v_div_fixup_f64 v[6:7], v[10:11], v[8:9], v[6:7]
	s_delay_alu instid0(VALU_DEP_1) | instskip(NEXT) | instid1(VALU_DEP_1)
	v_fma_f64 v[6:7], v[6:7], v[6:7], 1.0
	v_cmp_gt_f64_e32 vcc_lo, 0x10000000, v[6:7]
	v_cndmask_b32_e64 v10, 0, 1, vcc_lo
	s_delay_alu instid0(VALU_DEP_1) | instskip(NEXT) | instid1(VALU_DEP_1)
	v_lshlrev_b32_e32 v10, 8, v10
	v_ldexp_f64 v[6:7], v[6:7], v10
	s_delay_alu instid0(VALU_DEP_1) | instskip(SKIP_3) | instid1(VALU_DEP_1)
	v_rsq_f64_e32 v[10:11], v[6:7]
	s_waitcnt_depctr 0xfff
	v_mul_f64 v[23:24], v[6:7], v[10:11]
	v_mul_f64 v[10:11], v[10:11], 0.5
	v_fma_f64 v[25:26], -v[10:11], v[23:24], 0.5
	s_delay_alu instid0(VALU_DEP_1) | instskip(SKIP_1) | instid1(VALU_DEP_2)
	v_fma_f64 v[23:24], v[23:24], v[25:26], v[23:24]
	v_fma_f64 v[10:11], v[10:11], v[25:26], v[10:11]
	v_fma_f64 v[25:26], -v[23:24], v[23:24], v[6:7]
	s_delay_alu instid0(VALU_DEP_1) | instskip(NEXT) | instid1(VALU_DEP_1)
	v_fma_f64 v[23:24], v[25:26], v[10:11], v[23:24]
	v_fma_f64 v[25:26], -v[23:24], v[23:24], v[6:7]
	s_delay_alu instid0(VALU_DEP_1) | instskip(SKIP_2) | instid1(VALU_DEP_2)
	v_fma_f64 v[10:11], v[25:26], v[10:11], v[23:24]
	v_cndmask_b32_e64 v23, 0, 0xffffff80, vcc_lo
	v_cmp_class_f64_e64 vcc_lo, v[6:7], 0x260
	v_ldexp_f64 v[10:11], v[10:11], v23
	s_delay_alu instid0(VALU_DEP_1) | instskip(NEXT) | instid1(VALU_DEP_1)
	v_dual_cndmask_b32 v7, v11, v7 :: v_dual_cndmask_b32 v6, v10, v6
	v_mul_f64 v[10:11], v[8:9], v[6:7]
.LBB23_61:                              ;   in Loop: Header=BB23_54 Depth=1
	s_or_b32 exec_lo, exec_lo, s6
                                        ; implicit-def: $vgpr6_vgpr7
                                        ; implicit-def: $vgpr8_vgpr9
.LBB23_62:                              ;   in Loop: Header=BB23_54 Depth=1
	s_and_not1_saveexec_b32 s3, s3
	s_cbranch_execz .LBB23_64
; %bb.63:                               ;   in Loop: Header=BB23_54 Depth=1
	v_div_scale_f64 v[10:11], null, v[6:7], v[6:7], v[8:9]
	v_div_scale_f64 v[27:28], vcc_lo, v[8:9], v[6:7], v[8:9]
	s_delay_alu instid0(VALU_DEP_2) | instskip(SKIP_2) | instid1(VALU_DEP_1)
	v_rcp_f64_e32 v[23:24], v[10:11]
	s_waitcnt_depctr 0xfff
	v_fma_f64 v[25:26], -v[10:11], v[23:24], 1.0
	v_fma_f64 v[23:24], v[23:24], v[25:26], v[23:24]
	s_delay_alu instid0(VALU_DEP_1) | instskip(NEXT) | instid1(VALU_DEP_1)
	v_fma_f64 v[25:26], -v[10:11], v[23:24], 1.0
	v_fma_f64 v[23:24], v[23:24], v[25:26], v[23:24]
	s_delay_alu instid0(VALU_DEP_1) | instskip(NEXT) | instid1(VALU_DEP_1)
	v_mul_f64 v[25:26], v[27:28], v[23:24]
	v_fma_f64 v[10:11], -v[10:11], v[25:26], v[27:28]
	s_delay_alu instid0(VALU_DEP_1) | instskip(NEXT) | instid1(VALU_DEP_1)
	v_div_fmas_f64 v[10:11], v[10:11], v[23:24], v[25:26]
	v_div_fixup_f64 v[8:9], v[10:11], v[6:7], v[8:9]
	s_delay_alu instid0(VALU_DEP_1) | instskip(NEXT) | instid1(VALU_DEP_1)
	v_fma_f64 v[8:9], v[8:9], v[8:9], 1.0
	v_cmp_gt_f64_e32 vcc_lo, 0x10000000, v[8:9]
	v_cndmask_b32_e64 v10, 0, 1, vcc_lo
	s_delay_alu instid0(VALU_DEP_1) | instskip(NEXT) | instid1(VALU_DEP_1)
	v_lshlrev_b32_e32 v10, 8, v10
	v_ldexp_f64 v[8:9], v[8:9], v10
	s_delay_alu instid0(VALU_DEP_1) | instskip(SKIP_3) | instid1(VALU_DEP_1)
	v_rsq_f64_e32 v[10:11], v[8:9]
	s_waitcnt_depctr 0xfff
	v_mul_f64 v[23:24], v[8:9], v[10:11]
	v_mul_f64 v[10:11], v[10:11], 0.5
	v_fma_f64 v[25:26], -v[10:11], v[23:24], 0.5
	s_delay_alu instid0(VALU_DEP_1) | instskip(SKIP_1) | instid1(VALU_DEP_2)
	v_fma_f64 v[23:24], v[23:24], v[25:26], v[23:24]
	v_fma_f64 v[10:11], v[10:11], v[25:26], v[10:11]
	v_fma_f64 v[25:26], -v[23:24], v[23:24], v[8:9]
	s_delay_alu instid0(VALU_DEP_1) | instskip(NEXT) | instid1(VALU_DEP_1)
	v_fma_f64 v[23:24], v[25:26], v[10:11], v[23:24]
	v_fma_f64 v[25:26], -v[23:24], v[23:24], v[8:9]
	s_delay_alu instid0(VALU_DEP_1) | instskip(SKIP_2) | instid1(VALU_DEP_2)
	v_fma_f64 v[10:11], v[25:26], v[10:11], v[23:24]
	v_cndmask_b32_e64 v23, 0, 0xffffff80, vcc_lo
	v_cmp_class_f64_e64 vcc_lo, v[8:9], 0x260
	v_ldexp_f64 v[10:11], v[10:11], v23
	s_delay_alu instid0(VALU_DEP_1) | instskip(NEXT) | instid1(VALU_DEP_1)
	v_dual_cndmask_b32 v9, v11, v9 :: v_dual_cndmask_b32 v8, v10, v8
	v_mul_f64 v[10:11], v[6:7], v[8:9]
.LBB23_64:                              ;   in Loop: Header=BB23_54 Depth=1
	s_or_b32 exec_lo, exec_lo, s3
	s_delay_alu instid0(VALU_DEP_1)
	v_cmp_le_f64_e32 vcc_lo, v[10:11], v[4:5]
	v_cndmask_b32_e64 v6, v13, 0, vcc_lo
	scratch_load_b128 v[6:9], v6, off
	s_waitcnt vmcnt(0)
	scratch_store_b128 off, v[6:9], off offset:16
	s_waitcnt_vscnt null, 0x0
	buffer_gl0_inv
	s_and_saveexec_b32 s3, s2
	s_cbranch_execz .LBB23_66
; %bb.65:                               ;   in Loop: Header=BB23_54 Depth=1
	scratch_load_b128 v[6:9], off, off offset:16
	s_waitcnt vmcnt(0)
	ds_store_2addr_b64 v22, v[6:7], v[8:9] offset1:1
.LBB23_66:                              ;   in Loop: Header=BB23_54 Depth=1
	s_or_b32 exec_lo, exec_lo, s3
	s_mov_b32 s6, -1
	s_mov_b32 s3, 0
	s_branch .LBB23_56
.LBB23_67:                              ;   in Loop: Header=BB23_54 Depth=1
	v_cmp_neq_f64_e32 vcc_lo, 0, v[0:1]
	v_cmp_neq_f64_e64 s3, 0, v[2:3]
	s_and_not1_b32 s6, s6, exec_lo
	s_delay_alu instid0(VALU_DEP_1) | instskip(NEXT) | instid1(SALU_CYCLE_1)
	s_or_b32 s3, vcc_lo, s3
	s_and_b32 s7, s3, exec_lo
	s_mov_b32 s3, -1
	s_or_b32 s6, s6, s7
	v_add_nc_u32_e32 v6, 1, v14
	s_and_saveexec_b32 s7, s6
	s_delay_alu instid0(SALU_CYCLE_1)
	s_xor_b32 s6, exec_lo, s7
	s_cbranch_execz .LBB23_57
.LBB23_68:                              ;   in Loop: Header=BB23_54 Depth=1
	v_add_nc_u32_e32 v14, 1, v14
	s_mov_b32 s7, exec_lo
	s_delay_alu instid0(VALU_DEP_1) | instskip(NEXT) | instid1(VALU_DEP_1)
	v_add_nc_u32_e32 v0, v14, v16
	v_cmpx_gt_i32_e64 s19, v0
	s_cbranch_execz .LBB23_73
; %bb.69:                               ;   in Loop: Header=BB23_54 Depth=1
	scratch_load_b128 v[0:3], off, off offset:16
	s_waitcnt vmcnt(0)
	v_mul_f64 v[7:8], v[2:3], v[2:3]
	s_delay_alu instid0(VALU_DEP_1) | instskip(NEXT) | instid1(VALU_DEP_1)
	v_fma_f64 v[23:24], v[0:1], v[0:1], v[7:8]
	v_div_scale_f64 v[7:8], null, v[23:24], v[23:24], 1.0
	v_div_scale_f64 v[27:28], vcc_lo, 1.0, v[23:24], 1.0
	s_delay_alu instid0(VALU_DEP_2) | instskip(SKIP_2) | instid1(VALU_DEP_1)
	v_rcp_f64_e32 v[9:10], v[7:8]
	s_waitcnt_depctr 0xfff
	v_fma_f64 v[25:26], -v[7:8], v[9:10], 1.0
	v_fma_f64 v[9:10], v[9:10], v[25:26], v[9:10]
	s_delay_alu instid0(VALU_DEP_1) | instskip(NEXT) | instid1(VALU_DEP_1)
	v_fma_f64 v[25:26], -v[7:8], v[9:10], 1.0
	v_fma_f64 v[25:26], v[9:10], v[25:26], v[9:10]
	s_delay_alu instid0(VALU_DEP_1) | instskip(NEXT) | instid1(VALU_DEP_1)
	v_mul_f64 v[29:30], v[27:28], v[25:26]
	v_fma_f64 v[27:28], -v[7:8], v[29:30], v[27:28]
	v_lshl_add_u32 v7, v16, 4, v22
	ds_load_b128 v[8:11], v7 offset:16
	s_waitcnt lgkmcnt(0)
	s_waitcnt_vscnt null, 0x0
	buffer_gl0_inv
	v_mul_f64 v[31:32], v[10:11], v[2:3]
	v_mul_f64 v[2:3], v[2:3], -v[8:9]
	v_div_fmas_f64 v[25:26], v[27:28], v[25:26], v[29:30]
	s_delay_alu instid0(VALU_DEP_3) | instskip(NEXT) | instid1(VALU_DEP_3)
	v_fma_f64 v[8:9], v[8:9], v[0:1], v[31:32]
	v_fma_f64 v[2:3], v[10:11], v[0:1], v[2:3]
	s_delay_alu instid0(VALU_DEP_3) | instskip(NEXT) | instid1(VALU_DEP_1)
	v_div_fixup_f64 v[23:24], v[25:26], v[23:24], 1.0
	v_mul_f64 v[0:1], v[8:9], v[23:24]
	s_delay_alu instid0(VALU_DEP_3)
	v_mul_f64 v[2:3], v[2:3], v[23:24]
	s_and_saveexec_b32 s10, s1
	s_cbranch_execz .LBB23_71
; %bb.70:                               ;   in Loop: Header=BB23_54 Depth=1
	ds_store_b128 v7, v[0:3] offset:16
.LBB23_71:                              ;   in Loop: Header=BB23_54 Depth=1
	s_or_b32 exec_lo, exec_lo, s10
	v_add_nc_u32_e32 v8, v14, v15
	s_delay_alu instid0(VALU_DEP_1)
	v_cmp_gt_i32_e32 vcc_lo, s19, v8
	s_and_b32 exec_lo, exec_lo, vcc_lo
	s_cbranch_execz .LBB23_73
; %bb.72:                               ;   in Loop: Header=BB23_54 Depth=1
	v_add_nc_u32_e32 v8, v22, v21
	v_add_nc_u32_e32 v11, v7, v21
	ds_load_b128 v[7:10], v8 offset:144
	ds_load_b128 v[22:25], v11 offset:160
	s_waitcnt lgkmcnt(0)
	v_fma_f64 v[22:23], -v[0:1], v[7:8], v[22:23]
	v_fma_f64 v[24:25], -v[2:3], v[7:8], v[24:25]
	s_delay_alu instid0(VALU_DEP_2) | instskip(NEXT) | instid1(VALU_DEP_2)
	v_fma_f64 v[7:8], v[2:3], v[9:10], v[22:23]
	v_fma_f64 v[9:10], -v[0:1], v[9:10], v[24:25]
	ds_store_b128 v11, v[7:10] offset:160
.LBB23_73:                              ;   in Loop: Header=BB23_54 Depth=1
	s_or_b32 exec_lo, exec_lo, s7
	s_delay_alu instid0(SALU_CYCLE_1)
	s_and_b32 s25, s25, exec_lo
	s_and_not1_b32 s3, s3, exec_lo
	s_or_b32 exec_lo, exec_lo, s6
	s_and_saveexec_b32 s6, s3
	s_cbranch_execz .LBB23_53
.LBB23_74:                              ;   in Loop: Header=BB23_54 Depth=1
	v_mov_b32_e32 v14, v6
	s_or_b32 s25, s25, exec_lo
	s_branch .LBB23_53
.LBB23_75:
	s_mov_b32 s4, -1
	s_branch .LBB23_103
.LBB23_76:
	s_mov_b32 s4, s25
	s_add_i32 s1, s26, 1
	s_delay_alu instid0(SALU_CYCLE_1)
	s_cmp_ge_i32 s1, s21
	s_cbranch_scc0 .LBB23_80
	s_branch .LBB23_103
.LBB23_77:
	s_or_b32 exec_lo, exec_lo, s5
	s_waitcnt lgkmcnt(0)
	s_waitcnt_vscnt null, 0x0
	buffer_gl0_inv
	s_and_saveexec_b32 s1, s0
	s_cbranch_execz .LBB23_79
.LBB23_78:
	s_cmp_eq_u32 s28, 0
	s_cselect_b32 vcc_lo, -1, 0
	v_cndmask_b32_e32 v0, v15, v16, vcc_lo
	s_delay_alu instid0(VALU_DEP_1) | instskip(SKIP_1) | instid1(VALU_DEP_1)
	v_mad_u64_u32 v[1:2], null, s26, s19, v[0:1]
	v_cndmask_b32_e32 v0, v16, v15, vcc_lo
	v_mad_u64_u32 v[4:5], null, v1, s19, v[0:1]
	v_mov_b32_e32 v5, 0
	ds_load_2addr_b64 v[0:3], v12 offset1:1
	v_lshlrev_b64 v[4:5], 4, v[4:5]
	s_delay_alu instid0(VALU_DEP_1) | instskip(NEXT) | instid1(VALU_DEP_2)
	v_add_co_u32 v4, vcc_lo, s8, v4
	v_add_co_ci_u32_e32 v5, vcc_lo, s9, v5, vcc_lo
	s_waitcnt lgkmcnt(0)
	global_store_b128 v[4:5], v[0:3], off
.LBB23_79:
	s_or_b32 exec_lo, exec_lo, s1
	s_add_i32 s1, s26, 1
	s_delay_alu instid0(SALU_CYCLE_1)
	s_cmp_ge_i32 s1, s21
	s_cbranch_scc1 .LBB23_103
.LBB23_80:
	s_cmp_eq_u32 s28, 0
	v_dual_mov_b32 v11, 0 :: v_dual_lshlrev_b32 v8, 4, v15
	s_cselect_b32 vcc_lo, -1, 0
	s_cmp_gt_i32 s19, 0
	v_mul_u32_u24_e32 v0, 0x90, v16
	s_cselect_b32 s2, -1, 0
	s_add_i32 s5, s19, -1
	s_and_b32 s3, s19, 3
	s_movk_i32 s7, 0x480
	s_cmp_gt_u32 s5, 2
	v_add3_u32 v7, v20, v19, 0x480
	v_cmp_gt_u32_e64 s0, s19, v18
	v_dual_cndmask_b32 v4, v15, v16 :: v_dual_cndmask_b32 v5, v16, v15
	s_cselect_b32 s5, -1, 0
	s_and_b32 s6, s19, 0x7ffffffc
	v_mad_u32_u24 v9, 0x90, v16, s7
	v_add_nc_u32_e32 v6, 16, v8
	v_add3_u32 v10, v0, v8, 0x490
	s_cmp_lg_u32 s3, 0
	s_cselect_b32 s7, -1, 0
	s_branch .LBB23_82
.LBB23_81:                              ;   in Loop: Header=BB23_82 Depth=1
	s_or_b32 exec_lo, exec_lo, s10
	s_add_i32 s1, s1, 1
	s_delay_alu instid0(SALU_CYCLE_1)
	s_cmp_lt_i32 s1, s21
	s_cbranch_scc0 .LBB23_103
.LBB23_82:                              ; =>This Loop Header: Depth=1
                                        ;     Child Loop BB23_88 Depth 2
                                        ;     Child Loop BB23_99 Depth 2
	v_mov_b32_e32 v2, 0
	v_mov_b32_e32 v3, 0
	s_delay_alu instid0(VALU_DEP_2)
	v_mov_b32_e32 v0, v2
	s_waitcnt lgkmcnt(0)
	s_waitcnt_vscnt null, 0x0
	buffer_gl0_inv
	v_mov_b32_e32 v1, v3
	s_and_saveexec_b32 s10, s0
	s_cbranch_execz .LBB23_84
; %bb.83:                               ;   in Loop: Header=BB23_82 Depth=1
	v_mad_u64_u32 v[0:1], null, s1, s19, v[4:5]
	s_delay_alu instid0(VALU_DEP_1) | instskip(SKIP_1) | instid1(VALU_DEP_1)
	v_mad_u64_u32 v[1:2], null, v0, s19, v[5:6]
	v_mov_b32_e32 v2, v11
	v_lshlrev_b64 v[0:1], 4, v[1:2]
	s_delay_alu instid0(VALU_DEP_1) | instskip(NEXT) | instid1(VALU_DEP_2)
	v_add_co_u32 v0, vcc_lo, s8, v0
	v_add_co_ci_u32_e32 v1, vcc_lo, s9, v1, vcc_lo
	global_load_b128 v[0:3], v[0:1], off
.LBB23_84:                              ;   in Loop: Header=BB23_82 Depth=1
	s_or_b32 exec_lo, exec_lo, s10
	s_delay_alu instid0(SALU_CYCLE_1)
	s_and_not1_b32 vcc_lo, exec_lo, s2
	s_waitcnt vmcnt(0)
	ds_store_b128 v7, v[0:3]
	s_waitcnt lgkmcnt(0)
	buffer_gl0_inv
	s_cbranch_vccnz .LBB23_101
; %bb.85:                               ;   in Loop: Header=BB23_82 Depth=1
	s_and_not1_b32 vcc_lo, exec_lo, s5
	s_mov_b32 s12, 0
	s_cbranch_vccnz .LBB23_96
; %bb.86:                               ;   in Loop: Header=BB23_82 Depth=1
	v_mov_b32_e32 v0, v9
	s_mov_b32 s10, 0
	s_mov_b32 s11, 16
	s_branch .LBB23_88
.LBB23_87:                              ;   in Loop: Header=BB23_88 Depth=2
	s_or_b32 exec_lo, exec_lo, s12
	v_add_nc_u32_e32 v0, 64, v0
	s_add_i32 s10, s10, 4
	s_addk_i32 s11, 0x280
	s_cmp_eq_u32 s6, s10
	s_mov_b32 s12, s6
	s_cbranch_scc1 .LBB23_96
.LBB23_88:                              ;   Parent Loop BB23_82 Depth=1
                                        ; =>  This Inner Loop Header: Depth=2
	v_add_nc_u32_e32 v3, s10, v15
	v_add_nc_u32_e32 v2, s11, v8
	s_delay_alu instid0(VALU_DEP_2) | instskip(NEXT) | instid1(VALU_DEP_1)
	v_add_nc_u32_e32 v1, 1, v3
	v_cmp_gt_i32_e32 vcc_lo, s19, v1
	v_add_nc_u32_e32 v1, v0, v8
	s_and_saveexec_b32 s12, vcc_lo
	s_cbranch_execz .LBB23_90
; %bb.89:                               ;   in Loop: Header=BB23_88 Depth=2
	ds_load_b128 v[17:20], v2
	ds_load_b128 v[21:24], v0
	ds_load_b128 v[25:28], v1 offset:16
	s_waitcnt lgkmcnt(0)
	v_fma_f64 v[12:13], -v[17:18], v[21:22], v[25:26]
	v_fma_f64 v[21:22], -v[19:20], v[21:22], v[27:28]
	s_delay_alu instid0(VALU_DEP_2) | instskip(NEXT) | instid1(VALU_DEP_2)
	v_fma_f64 v[19:20], v[19:20], v[23:24], v[12:13]
	v_fma_f64 v[21:22], -v[17:18], v[23:24], v[21:22]
	ds_store_b128 v1, v[19:22] offset:16
.LBB23_90:                              ;   in Loop: Header=BB23_88 Depth=2
	s_or_b32 exec_lo, exec_lo, s12
	v_add_nc_u32_e32 v12, 2, v3
	s_mov_b32 s12, exec_lo
	s_delay_alu instid0(VALU_DEP_1)
	v_cmpx_gt_i32_e64 s19, v12
	s_cbranch_execz .LBB23_92
; %bb.91:                               ;   in Loop: Header=BB23_88 Depth=2
	ds_load_b128 v[17:20], v2 offset:160
	ds_load_b128 v[21:24], v0 offset:16
	;; [unrolled: 1-line block ×3, first 2 shown]
	s_waitcnt lgkmcnt(0)
	v_fma_f64 v[12:13], -v[17:18], v[21:22], v[25:26]
	v_fma_f64 v[21:22], -v[19:20], v[21:22], v[27:28]
	s_delay_alu instid0(VALU_DEP_2) | instskip(NEXT) | instid1(VALU_DEP_2)
	v_fma_f64 v[19:20], v[19:20], v[23:24], v[12:13]
	v_fma_f64 v[21:22], -v[17:18], v[23:24], v[21:22]
	ds_store_b128 v1, v[19:22] offset:32
.LBB23_92:                              ;   in Loop: Header=BB23_88 Depth=2
	s_or_b32 exec_lo, exec_lo, s12
	v_add_nc_u32_e32 v12, 3, v3
	s_mov_b32 s12, exec_lo
	s_delay_alu instid0(VALU_DEP_1)
	v_cmpx_gt_i32_e64 s19, v12
	s_cbranch_execz .LBB23_94
; %bb.93:                               ;   in Loop: Header=BB23_88 Depth=2
	ds_load_b128 v[17:20], v2 offset:320
	ds_load_b128 v[21:24], v0 offset:32
	;; [unrolled: 1-line block ×3, first 2 shown]
	s_waitcnt lgkmcnt(0)
	v_fma_f64 v[12:13], -v[17:18], v[21:22], v[25:26]
	v_fma_f64 v[21:22], -v[19:20], v[21:22], v[27:28]
	s_delay_alu instid0(VALU_DEP_2) | instskip(NEXT) | instid1(VALU_DEP_2)
	v_fma_f64 v[19:20], v[19:20], v[23:24], v[12:13]
	v_fma_f64 v[21:22], -v[17:18], v[23:24], v[21:22]
	ds_store_b128 v1, v[19:22] offset:48
.LBB23_94:                              ;   in Loop: Header=BB23_88 Depth=2
	s_or_b32 exec_lo, exec_lo, s12
	v_add_nc_u32_e32 v3, 4, v3
	s_mov_b32 s12, exec_lo
	s_delay_alu instid0(VALU_DEP_1)
	v_cmpx_gt_i32_e64 s19, v3
	s_cbranch_execz .LBB23_87
; %bb.95:                               ;   in Loop: Header=BB23_88 Depth=2
	ds_load_b128 v[17:20], v2 offset:480
	ds_load_b128 v[21:24], v0 offset:48
	;; [unrolled: 1-line block ×3, first 2 shown]
	s_waitcnt lgkmcnt(0)
	v_fma_f64 v[2:3], -v[17:18], v[21:22], v[25:26]
	v_fma_f64 v[12:13], -v[19:20], v[21:22], v[27:28]
	s_delay_alu instid0(VALU_DEP_2) | instskip(NEXT) | instid1(VALU_DEP_2)
	v_fma_f64 v[19:20], v[19:20], v[23:24], v[2:3]
	v_fma_f64 v[21:22], -v[17:18], v[23:24], v[12:13]
	ds_store_b128 v1, v[19:22] offset:64
	s_branch .LBB23_87
.LBB23_96:                              ;   in Loop: Header=BB23_82 Depth=1
	s_and_not1_b32 vcc_lo, exec_lo, s7
	s_cbranch_vccnz .LBB23_101
; %bb.97:                               ;   in Loop: Header=BB23_82 Depth=1
	v_mad_u64_u32 v[0:1], null, 0xa0, s12, v[6:7]
	s_lshl_b32 s10, s12, 4
	v_add_nc_u32_e32 v1, s12, v15
	v_add_nc_u32_e32 v2, s10, v10
	;; [unrolled: 1-line block ×3, first 2 shown]
	s_mov_b32 s10, s3
	s_set_inst_prefetch_distance 0x1
	s_branch .LBB23_99
	.p2align	6
.LBB23_98:                              ;   in Loop: Header=BB23_99 Depth=2
	s_or_b32 exec_lo, exec_lo, s11
	v_add_nc_u32_e32 v0, 0xa0, v0
	v_add_nc_u32_e32 v2, 16, v2
	;; [unrolled: 1-line block ×3, first 2 shown]
	s_add_i32 s10, s10, -1
	s_delay_alu instid0(SALU_CYCLE_1)
	s_cmp_lg_u32 s10, 0
	s_cbranch_scc0 .LBB23_101
.LBB23_99:                              ;   Parent Loop BB23_82 Depth=1
                                        ; =>  This Inner Loop Header: Depth=2
	v_add_nc_u32_e32 v1, 1, v1
	s_mov_b32 s11, exec_lo
	s_delay_alu instid0(VALU_DEP_1)
	v_cmpx_gt_i32_e64 s19, v1
	s_cbranch_execz .LBB23_98
; %bb.100:                              ;   in Loop: Header=BB23_99 Depth=2
	ds_load_b128 v[17:20], v0
	ds_load_b128 v[21:24], v3
	;; [unrolled: 1-line block ×3, first 2 shown]
	s_waitcnt lgkmcnt(0)
	v_fma_f64 v[12:13], -v[17:18], v[21:22], v[25:26]
	v_fma_f64 v[21:22], -v[19:20], v[21:22], v[27:28]
	s_delay_alu instid0(VALU_DEP_2) | instskip(NEXT) | instid1(VALU_DEP_2)
	v_fma_f64 v[19:20], v[19:20], v[23:24], v[12:13]
	v_fma_f64 v[21:22], -v[17:18], v[23:24], v[21:22]
	ds_store_b128 v2, v[19:22]
	s_branch .LBB23_98
.LBB23_101:                             ;   in Loop: Header=BB23_82 Depth=1
	s_set_inst_prefetch_distance 0x2
	s_waitcnt lgkmcnt(0)
	buffer_gl0_inv
	s_and_saveexec_b32 s10, s0
	s_cbranch_execz .LBB23_81
; %bb.102:                              ;   in Loop: Header=BB23_82 Depth=1
	v_mad_u64_u32 v[0:1], null, s1, s19, v[4:5]
	s_delay_alu instid0(VALU_DEP_1) | instskip(SKIP_2) | instid1(VALU_DEP_1)
	v_mad_u64_u32 v[12:13], null, v0, s19, v[5:6]
	ds_load_2addr_b64 v[0:3], v7 offset1:1
	v_mov_b32_e32 v13, v11
	v_lshlrev_b64 v[12:13], 4, v[12:13]
	s_delay_alu instid0(VALU_DEP_1) | instskip(NEXT) | instid1(VALU_DEP_2)
	v_add_co_u32 v12, vcc_lo, s8, v12
	v_add_co_ci_u32_e32 v13, vcc_lo, s9, v13, vcc_lo
	s_waitcnt lgkmcnt(0)
	global_store_b128 v[12:13], v[0:3], off
	s_branch .LBB23_81
.LBB23_103:
	v_or_b32_e32 v0, v16, v15
	s_mov_b32 s0, exec_lo
	s_delay_alu instid0(VALU_DEP_1)
	v_cmpx_eq_u32_e32 0, v0
	s_cbranch_execz .LBB23_107
; %bb.104:
	v_dual_mov_b32 v0, 0 :: v_dual_mov_b32 v1, 1
	s_add_u32 s0, s16, s22
	s_addc_u32 s1, s17, s23
	s_waitcnt_vscnt null, 0x0
	global_store_b32 v0, v1, s[0:1]
	s_and_b32 exec_lo, exec_lo, s4
	s_cbranch_execz .LBB23_107
; %bb.105:
	v_mbcnt_lo_u32_b32 v0, exec_lo, 0
	s_delay_alu instid0(VALU_DEP_1)
	v_cmp_eq_u32_e32 vcc_lo, 0, v0
	s_and_b32 exec_lo, exec_lo, vcc_lo
	s_cbranch_execz .LBB23_107
; %bb.106:
	s_add_i32 s0, s18, s20
	s_delay_alu instid0(SALU_CYCLE_1)
	v_dual_mov_b32 v0, 0 :: v_dual_mov_b32 v1, s0
	global_atomic_min_i32 v0, v1, s[14:15]
.LBB23_107:
	s_endpgm
.LBB23_108:
	s_mov_b32 s4, s25
	buffer_gl0_inv
	s_and_saveexec_b32 s1, s0
	s_cbranch_execnz .LBB23_78
	s_branch .LBB23_79
	.section	.rodata,"a",@progbits
	.p2align	6, 0x0
	.amdhsa_kernel _ZN9rocsparseL11bsrilu0_2_8ILj64ELj64ELj8E21rocsparse_complex_numIdEEEv20rocsparse_direction_iPKiS5_PT2_S5_iPiS5_S8_21rocsparse_index_base_imNS_24const_host_device_scalarIfEENSA_IdEENSA_IS6_EEb
		.amdhsa_group_segment_fixed_size 2816
		.amdhsa_private_segment_fixed_size 40
		.amdhsa_kernarg_size 384
		.amdhsa_user_sgpr_count 15
		.amdhsa_user_sgpr_dispatch_ptr 1
		.amdhsa_user_sgpr_queue_ptr 0
		.amdhsa_user_sgpr_kernarg_segment_ptr 1
		.amdhsa_user_sgpr_dispatch_id 0
		.amdhsa_user_sgpr_private_segment_size 0
		.amdhsa_wavefront_size32 1
		.amdhsa_uses_dynamic_stack 0
		.amdhsa_enable_private_segment 1
		.amdhsa_system_sgpr_workgroup_id_x 1
		.amdhsa_system_sgpr_workgroup_id_y 0
		.amdhsa_system_sgpr_workgroup_id_z 0
		.amdhsa_system_sgpr_workgroup_info 0
		.amdhsa_system_vgpr_workitem_id 2
		.amdhsa_next_free_vgpr 39
		.amdhsa_next_free_sgpr 40
		.amdhsa_reserve_vcc 1
		.amdhsa_float_round_mode_32 0
		.amdhsa_float_round_mode_16_64 0
		.amdhsa_float_denorm_mode_32 3
		.amdhsa_float_denorm_mode_16_64 3
		.amdhsa_dx10_clamp 1
		.amdhsa_ieee_mode 1
		.amdhsa_fp16_overflow 0
		.amdhsa_workgroup_processor_mode 1
		.amdhsa_memory_ordered 1
		.amdhsa_forward_progress 0
		.amdhsa_shared_vgpr_count 0
		.amdhsa_exception_fp_ieee_invalid_op 0
		.amdhsa_exception_fp_denorm_src 0
		.amdhsa_exception_fp_ieee_div_zero 0
		.amdhsa_exception_fp_ieee_overflow 0
		.amdhsa_exception_fp_ieee_underflow 0
		.amdhsa_exception_fp_ieee_inexact 0
		.amdhsa_exception_int_div_zero 0
	.end_amdhsa_kernel
	.section	.text._ZN9rocsparseL11bsrilu0_2_8ILj64ELj64ELj8E21rocsparse_complex_numIdEEEv20rocsparse_direction_iPKiS5_PT2_S5_iPiS5_S8_21rocsparse_index_base_imNS_24const_host_device_scalarIfEENSA_IdEENSA_IS6_EEb,"axG",@progbits,_ZN9rocsparseL11bsrilu0_2_8ILj64ELj64ELj8E21rocsparse_complex_numIdEEEv20rocsparse_direction_iPKiS5_PT2_S5_iPiS5_S8_21rocsparse_index_base_imNS_24const_host_device_scalarIfEENSA_IdEENSA_IS6_EEb,comdat
.Lfunc_end23:
	.size	_ZN9rocsparseL11bsrilu0_2_8ILj64ELj64ELj8E21rocsparse_complex_numIdEEEv20rocsparse_direction_iPKiS5_PT2_S5_iPiS5_S8_21rocsparse_index_base_imNS_24const_host_device_scalarIfEENSA_IdEENSA_IS6_EEb, .Lfunc_end23-_ZN9rocsparseL11bsrilu0_2_8ILj64ELj64ELj8E21rocsparse_complex_numIdEEEv20rocsparse_direction_iPKiS5_PT2_S5_iPiS5_S8_21rocsparse_index_base_imNS_24const_host_device_scalarIfEENSA_IdEENSA_IS6_EEb
                                        ; -- End function
	.section	.AMDGPU.csdata,"",@progbits
; Kernel info:
; codeLenInByte = 5320
; NumSgprs: 42
; NumVgprs: 39
; ScratchSize: 40
; MemoryBound: 0
; FloatMode: 240
; IeeeMode: 1
; LDSByteSize: 2816 bytes/workgroup (compile time only)
; SGPRBlocks: 5
; VGPRBlocks: 4
; NumSGPRsForWavesPerEU: 42
; NumVGPRsForWavesPerEU: 39
; Occupancy: 16
; WaveLimiterHint : 1
; COMPUTE_PGM_RSRC2:SCRATCH_EN: 1
; COMPUTE_PGM_RSRC2:USER_SGPR: 15
; COMPUTE_PGM_RSRC2:TRAP_HANDLER: 0
; COMPUTE_PGM_RSRC2:TGID_X_EN: 1
; COMPUTE_PGM_RSRC2:TGID_Y_EN: 0
; COMPUTE_PGM_RSRC2:TGID_Z_EN: 0
; COMPUTE_PGM_RSRC2:TIDIG_COMP_CNT: 2
	.section	.text._ZN9rocsparseL12bsrilu0_9_32ILj64ELj64ELj16E21rocsparse_complex_numIdEEEv20rocsparse_direction_iPKiS5_PT2_S5_iPiS5_S8_21rocsparse_index_base_imNS_24const_host_device_scalarIfEENSA_IdEENSA_IS6_EEb,"axG",@progbits,_ZN9rocsparseL12bsrilu0_9_32ILj64ELj64ELj16E21rocsparse_complex_numIdEEEv20rocsparse_direction_iPKiS5_PT2_S5_iPiS5_S8_21rocsparse_index_base_imNS_24const_host_device_scalarIfEENSA_IdEENSA_IS6_EEb,comdat
	.globl	_ZN9rocsparseL12bsrilu0_9_32ILj64ELj64ELj16E21rocsparse_complex_numIdEEEv20rocsparse_direction_iPKiS5_PT2_S5_iPiS5_S8_21rocsparse_index_base_imNS_24const_host_device_scalarIfEENSA_IdEENSA_IS6_EEb ; -- Begin function _ZN9rocsparseL12bsrilu0_9_32ILj64ELj64ELj16E21rocsparse_complex_numIdEEEv20rocsparse_direction_iPKiS5_PT2_S5_iPiS5_S8_21rocsparse_index_base_imNS_24const_host_device_scalarIfEENSA_IdEENSA_IS6_EEb
	.p2align	8
	.type	_ZN9rocsparseL12bsrilu0_9_32ILj64ELj64ELj16E21rocsparse_complex_numIdEEEv20rocsparse_direction_iPKiS5_PT2_S5_iPiS5_S8_21rocsparse_index_base_imNS_24const_host_device_scalarIfEENSA_IdEENSA_IS6_EEb,@function
_ZN9rocsparseL12bsrilu0_9_32ILj64ELj64ELj16E21rocsparse_complex_numIdEEEv20rocsparse_direction_iPKiS5_PT2_S5_iPiS5_S8_21rocsparse_index_base_imNS_24const_host_device_scalarIfEENSA_IdEENSA_IS6_EEb: ; @_ZN9rocsparseL12bsrilu0_9_32ILj64ELj64ELj16E21rocsparse_complex_numIdEEEv20rocsparse_direction_iPKiS5_PT2_S5_iPiS5_S8_21rocsparse_index_base_imNS_24const_host_device_scalarIfEENSA_IdEENSA_IS6_EEb
; %bb.0:
	s_clause 0x3
	s_load_b32 s2, s[0:1], 0x78
	s_load_b64 s[24:25], s[0:1], 0x48
	s_load_b256 s[16:23], s[0:1], 0x50
	s_load_b64 s[4:5], s[0:1], 0x70
	s_mov_b32 s6, s15
	s_waitcnt lgkmcnt(0)
	s_bitcmp1_b32 s2, 0
	s_cselect_b32 s2, -1, 0
	s_cmp_lg_u32 s25, 0
	v_dual_mov_b32 v1, s22 :: v_dual_mov_b32 v2, s23
	s_cselect_b32 s3, -1, 0
	s_cmp_eq_u32 s25, 0
	s_cselect_b32 s10, -1, 0
	scratch_store_b64 off, v[1:2], off offset:32
	s_and_b32 s7, s10, exec_lo
	s_cselect_b32 s8, 0, s20
	s_cselect_b32 s9, 0, s21
	s_or_b32 s7, s10, s2
	s_delay_alu instid0(SALU_CYCLE_1)
	s_and_b32 vcc_lo, exec_lo, s7
	s_xor_b32 s7, s7, -1
	s_cbranch_vccnz .LBB24_2
; %bb.1:
	s_load_b32 s8, s[18:19], 0x0
	s_waitcnt lgkmcnt(0)
	v_mov_b32_e32 v18, s8
	s_mov_b64 s[8:9], s[20:21]
	s_delay_alu instid0(SALU_CYCLE_1)
	v_dual_mov_b32 v10, s9 :: v_dual_mov_b32 v9, s8
	s_and_not1_b32 vcc_lo, exec_lo, s7
	s_cbranch_vccz .LBB24_3
	s_branch .LBB24_4
.LBB24_2:
	v_cndmask_b32_e64 v18, s18, 0, s10
	v_dual_mov_b32 v10, s9 :: v_dual_mov_b32 v9, s8
	s_and_not1_b32 vcc_lo, exec_lo, s7
	s_cbranch_vccnz .LBB24_4
.LBB24_3:
	v_dual_mov_b32 v1, s20 :: v_dual_mov_b32 v2, s21
	flat_load_b64 v[9:10], v[1:2]
.LBB24_4:
	v_mov_b32_e32 v1, 0
	v_mov_b32_e32 v2, 0
	v_cndmask_b32_e64 v17, 0, 1, s3
	s_and_not1_b32 vcc_lo, exec_lo, s3
	s_delay_alu instid0(VALU_DEP_2)
	v_dual_mov_b32 v4, v2 :: v_dual_mov_b32 v3, v1
	s_cbranch_vccnz .LBB24_7
; %bb.5:
	s_mov_b64 s[8:9], src_private_base
	s_xor_b32 s3, s2, -1
	s_and_b32 s7, s2, exec_lo
	s_cselect_b32 s7, s9, s23
	s_delay_alu instid0(SALU_CYCLE_1) | instskip(SKIP_2) | instid1(VALU_DEP_2)
	v_dual_mov_b32 v1, 32 :: v_dual_mov_b32 v2, s7
	v_dual_mov_b32 v3, s4 :: v_dual_mov_b32 v4, s5
	s_and_not1_b32 vcc_lo, exec_lo, s3
	v_cndmask_b32_e64 v1, s22, v1, s2
	flat_load_b64 v[1:2], v[1:2]
	s_cbranch_vccnz .LBB24_7
; %bb.6:
	v_dual_mov_b32 v3, s22 :: v_dual_mov_b32 v4, s23
	flat_load_b64 v[3:4], v[3:4] offset:8
.LBB24_7:
	s_clause 0x1
	s_load_b128 s[20:23], s[0:1], 0x30
	s_load_b64 s[18:19], s[0:1], 0x40
	s_mov_b32 s7, 0
	s_delay_alu instid0(SALU_CYCLE_1)
	s_lshl_b64 s[2:3], s[6:7], 2
	s_waitcnt lgkmcnt(0)
	s_add_u32 s2, s22, s2
	s_addc_u32 s3, s23, s3
	s_load_b32 s22, s[2:3], 0x0
	s_load_b256 s[8:15], s[0:1], 0x8
	s_waitcnt vmcnt(0)
	scratch_store_b128 off, v[1:4], off
	s_waitcnt lgkmcnt(0)
	s_ashr_i32 s23, s22, 31
	s_delay_alu instid0(SALU_CYCLE_1) | instskip(NEXT) | instid1(SALU_CYCLE_1)
	s_lshl_b64 s[26:27], s[22:23], 2
	s_add_u32 s2, s14, s26
	s_addc_u32 s3, s15, s27
	s_load_b32 s28, s[2:3], 0x0
	s_waitcnt lgkmcnt(0)
	s_cmp_eq_u32 s28, -1
	s_cbranch_scc1 .LBB24_104
; %bb.8:
	s_add_u32 s2, s8, s26
	s_addc_u32 s3, s9, s27
	s_load_b64 s[2:3], s[2:3], 0x0
	s_clause 0x1
	s_load_b64 s[30:31], s[0:1], 0x0
	s_load_b32 s23, s[0:1], 0x28
	s_waitcnt lgkmcnt(0)
	s_sub_i32 s34, s2, s24
	s_sub_i32 s25, s3, s24
	s_cmp_ge_i32 s34, s28
	s_cbranch_scc1 .LBB24_93
; %bb.9:
	v_bfe_u32 v19, v0, 10, 10
	v_dual_mov_b32 v28, 0 :: v_dual_and_b32 v11, 0x3ff, v0
	s_cmp_lg_u32 s30, 0
	s_mul_i32 s40, s23, s23
	s_delay_alu instid0(VALU_DEP_2) | instskip(NEXT) | instid1(VALU_DEP_2)
	v_lshlrev_b32_e32 v1, 4, v19
	v_lshlrev_b32_e32 v5, 4, v11
	s_cselect_b32 s29, -1, 0
	s_cmp_gt_i32 s23, 0
	v_cmp_gt_i32_e64 s0, s23, v11
	v_add3_u32 v12, v1, v11, s34
	v_mad_u32_u24 v21, 0x110, v19, v5
	s_cselect_b32 s33, -1, 0
	s_add_i32 s31, s31, 1
	v_cmp_le_i32_e64 s1, s23, v11
	v_ashrrev_i32_e32 v13, 31, v12
	v_mad_u64_u32 v[3:4], null, s23, s34, v[11:12]
	v_cmp_gt_i32_e64 s2, s23, v19
	v_cmp_eq_u32_e64 s3, 0, v19
	s_delay_alu instid0(VALU_DEP_4)
	v_lshlrev_b64 v[1:2], 2, v[12:13]
	v_add_nc_u32_e32 v20, 1, v19
	s_add_u32 s36, s8, 4
	v_cmp_gt_i32_e64 s4, s25, v12
	v_mul_lo_u32 v22, s23, v3
	v_mul_u32_u24_e32 v23, 0x110, v19
	v_add_co_u32 v13, vcc_lo, s10, v1
	v_add_co_ci_u32_e32 v14, vcc_lo, s11, v2, vcc_lo
	v_add_nc_u32_e32 v24, 0x1100, v21
	v_add_nc_u32_e32 v25, 0x1210, v21
	v_mad_u32_u24 v26, 0x110, v19, 0x110
	v_add_nc_u32_e32 v27, 0x1100, v5
	s_addc_u32 s37, s9, 0
	s_add_u32 s38, s10, 0x100
	s_addc_u32 s39, s11, 0
	s_lshl_b32 s41, s23, 4
	s_branch .LBB24_12
.LBB24_10:                              ;   in Loop: Header=BB24_12 Depth=1
	s_mov_b32 s7, -1
.LBB24_11:                              ;   in Loop: Header=BB24_12 Depth=1
	s_add_i32 s34, s34, 1
	v_add_nc_u32_e32 v22, s40, v22
	s_cmp_lt_i32 s34, s28
	s_cselect_b32 s6, -1, 0
	s_delay_alu instid0(SALU_CYCLE_1) | instskip(NEXT) | instid1(SALU_CYCLE_1)
	s_and_b32 s5, s5, s6
	s_and_b32 vcc_lo, exec_lo, s5
	s_cbranch_vccz .LBB24_93
.LBB24_12:                              ; =>This Loop Header: Depth=1
                                        ;     Child Loop BB24_15 Depth 2
                                        ;       Child Loop BB24_18 Depth 3
                                        ;     Child Loop BB24_24 Depth 2
                                        ;     Child Loop BB24_28 Depth 2
                                        ;       Child Loop BB24_31 Depth 3
                                        ;     Child Loop BB24_38 Depth 2
                                        ;       Child Loop BB24_41 Depth 3
                                        ;         Child Loop BB24_45 Depth 4
                                        ;     Child Loop BB24_49 Depth 2
                                        ;       Child Loop BB24_52 Depth 3
                                        ;     Child Loop BB24_61 Depth 2
                                        ;       Child Loop BB24_66 Depth 3
                                        ;       Child Loop BB24_75 Depth 3
                                        ;         Child Loop BB24_78 Depth 4
                                        ;       Child Loop BB24_84 Depth 3
                                        ;         Child Loop BB24_87 Depth 4
                                        ;           Child Loop BB24_88 Depth 5
	s_ashr_i32 s35, s34, 31
	s_delay_alu instid0(SALU_CYCLE_1) | instskip(NEXT) | instid1(SALU_CYCLE_1)
	s_lshl_b64 s[8:9], s[34:35], 2
	s_add_u32 s8, s10, s8
	s_addc_u32 s9, s11, s9
	global_load_b32 v1, v28, s[8:9]
	s_waitcnt vmcnt(0)
	v_readfirstlane_b32 s5, v1
	s_and_saveexec_b32 s6, s0
	s_cbranch_execz .LBB24_22
; %bb.13:                               ;   in Loop: Header=BB24_12 Depth=1
	v_dual_mov_b32 v4, v24 :: v_dual_mov_b32 v5, v22
	v_mov_b32_e32 v1, v11
	s_mul_i32 s8, s34, s23
	s_mov_b32 s9, 0
	s_set_inst_prefetch_distance 0x1
	s_branch .LBB24_15
	.p2align	6
.LBB24_14:                              ;   in Loop: Header=BB24_15 Depth=2
	s_or_b32 exec_lo, exec_lo, s35
	v_add_nc_u32_e32 v1, 16, v1
	v_add_nc_u32_e32 v5, s41, v5
	;; [unrolled: 1-line block ×3, first 2 shown]
	s_delay_alu instid0(VALU_DEP_3) | instskip(SKIP_1) | instid1(SALU_CYCLE_1)
	v_cmp_le_i32_e32 vcc_lo, s23, v1
	s_or_b32 s9, vcc_lo, s9
	s_and_not1_b32 exec_lo, exec_lo, s9
	s_cbranch_execz .LBB24_22
.LBB24_15:                              ;   Parent Loop BB24_12 Depth=1
                                        ; =>  This Loop Header: Depth=2
                                        ;       Child Loop BB24_18 Depth 3
	s_and_saveexec_b32 s35, s2
	s_cbranch_execz .LBB24_14
; %bb.16:                               ;   in Loop: Header=BB24_15 Depth=2
	v_dual_mov_b32 v6, v4 :: v_dual_mov_b32 v7, v19
	s_mov_b32 s42, 0
	s_branch .LBB24_18
	.p2align	6
.LBB24_17:                              ;   in Loop: Header=BB24_18 Depth=3
	s_delay_alu instid0(VALU_DEP_1) | instskip(SKIP_1) | instid1(VALU_DEP_2)
	v_ashrrev_i32_e32 v3, 31, v2
	v_add_nc_u32_e32 v7, 4, v7
	v_lshlrev_b64 v[2:3], 4, v[2:3]
	s_delay_alu instid0(VALU_DEP_1) | instskip(NEXT) | instid1(VALU_DEP_2)
	v_add_co_u32 v2, vcc_lo, s12, v2
	v_add_co_ci_u32_e32 v3, vcc_lo, s13, v3, vcc_lo
	s_delay_alu instid0(VALU_DEP_4)
	v_cmp_le_i32_e32 vcc_lo, s23, v7
	global_load_b128 v[29:32], v[2:3], off
	s_or_b32 s42, vcc_lo, s42
	s_waitcnt vmcnt(0)
	ds_store_2addr_b64 v6, v[29:30], v[31:32] offset1:1
	v_add_nc_u32_e32 v6, 0x440, v6
	s_and_not1_b32 exec_lo, exec_lo, s42
	s_cbranch_execz .LBB24_14
.LBB24_18:                              ;   Parent Loop BB24_12 Depth=1
                                        ;     Parent Loop BB24_15 Depth=2
                                        ; =>    This Inner Loop Header: Depth=3
	s_and_b32 vcc_lo, exec_lo, s29
	s_cbranch_vccz .LBB24_20
; %bb.19:                               ;   in Loop: Header=BB24_18 Depth=3
	v_add_nc_u32_e32 v8, s8, v7
	s_delay_alu instid0(VALU_DEP_1)
	v_mad_u64_u32 v[2:3], null, v8, s23, v[1:2]
	s_cbranch_execnz .LBB24_17
	s_branch .LBB24_21
	.p2align	6
.LBB24_20:                              ;   in Loop: Header=BB24_18 Depth=3
                                        ; implicit-def: $vgpr2
.LBB24_21:                              ;   in Loop: Header=BB24_18 Depth=3
	v_add_nc_u32_e32 v2, v5, v7
	s_branch .LBB24_17
.LBB24_22:                              ;   in Loop: Header=BB24_12 Depth=1
	s_set_inst_prefetch_distance 0x2
	s_or_b32 exec_lo, exec_lo, s6
	s_sub_i32 s8, s5, s24
	s_delay_alu instid0(SALU_CYCLE_1) | instskip(NEXT) | instid1(SALU_CYCLE_1)
	s_ashr_i32 s9, s8, 31
	s_lshl_b64 s[8:9], s[8:9], 2
	s_delay_alu instid0(SALU_CYCLE_1)
	s_add_u32 s42, s14, s8
	s_addc_u32 s43, s15, s9
	global_load_b32 v1, v28, s[42:43]
	s_waitcnt vmcnt(0)
	v_cmp_eq_u32_e32 vcc_lo, -1, v1
	v_readfirstlane_b32 s35, v1
	v_cmp_ne_u32_e64 s5, -1, v1
	s_cbranch_vccnz .LBB24_10
; %bb.23:                               ;   in Loop: Header=BB24_12 Depth=1
	s_add_u32 s42, s36, s8
	s_addc_u32 s43, s37, s9
	s_add_u32 s8, s20, s8
	global_load_b32 v1, v28, s[42:43]
	s_addc_u32 s9, s21, s9
	s_waitcnt vmcnt(0)
	v_readfirstlane_b32 s42, v1
.LBB24_24:                              ;   Parent Loop BB24_12 Depth=1
                                        ; =>  This Inner Loop Header: Depth=2
	global_load_b32 v1, v28, s[8:9] glc
	s_waitcnt vmcnt(0)
	v_cmp_eq_u32_e32 vcc_lo, 0, v1
	s_cbranch_vccnz .LBB24_24
; %bb.25:                               ;   in Loop: Header=BB24_12 Depth=1
	s_waitcnt lgkmcnt(0)
	s_waitcnt_vscnt null, 0x0
	buffer_gl1_inv
	buffer_gl0_inv
	s_and_saveexec_b32 s6, s0
	s_cbranch_execz .LBB24_35
; %bb.26:                               ;   in Loop: Header=BB24_12 Depth=1
	s_mul_i32 s8, s35, s23
	v_mov_b32_e32 v5, v21
	v_add_nc_u32_e32 v1, s8, v11
	s_mov_b32 s9, 0
	s_delay_alu instid0(VALU_DEP_1)
	v_mul_lo_u32 v4, s23, v1
	v_mov_b32_e32 v1, v11
	s_set_inst_prefetch_distance 0x1
	s_branch .LBB24_28
	.p2align	6
.LBB24_27:                              ;   in Loop: Header=BB24_28 Depth=2
	s_or_b32 exec_lo, exec_lo, s43
	v_add_nc_u32_e32 v1, 16, v1
	v_add_nc_u32_e32 v4, s41, v4
	;; [unrolled: 1-line block ×3, first 2 shown]
	s_delay_alu instid0(VALU_DEP_3) | instskip(SKIP_1) | instid1(SALU_CYCLE_1)
	v_cmp_le_i32_e32 vcc_lo, s23, v1
	s_or_b32 s9, vcc_lo, s9
	s_and_not1_b32 exec_lo, exec_lo, s9
	s_cbranch_execz .LBB24_35
.LBB24_28:                              ;   Parent Loop BB24_12 Depth=1
                                        ; =>  This Loop Header: Depth=2
                                        ;       Child Loop BB24_31 Depth 3
	s_and_saveexec_b32 s43, s2
	s_cbranch_execz .LBB24_27
; %bb.29:                               ;   in Loop: Header=BB24_28 Depth=2
	v_dual_mov_b32 v6, v5 :: v_dual_mov_b32 v7, v19
	s_mov_b32 s44, 0
	s_branch .LBB24_31
	.p2align	6
.LBB24_30:                              ;   in Loop: Header=BB24_31 Depth=3
	s_delay_alu instid0(VALU_DEP_1) | instskip(SKIP_1) | instid1(VALU_DEP_2)
	v_ashrrev_i32_e32 v3, 31, v2
	v_add_nc_u32_e32 v7, 4, v7
	v_lshlrev_b64 v[2:3], 4, v[2:3]
	s_delay_alu instid0(VALU_DEP_1) | instskip(NEXT) | instid1(VALU_DEP_2)
	v_add_co_u32 v2, vcc_lo, s12, v2
	v_add_co_ci_u32_e32 v3, vcc_lo, s13, v3, vcc_lo
	s_delay_alu instid0(VALU_DEP_4)
	v_cmp_le_i32_e32 vcc_lo, s23, v7
	global_load_b128 v[29:32], v[2:3], off
	s_or_b32 s44, vcc_lo, s44
	s_waitcnt vmcnt(0)
	ds_store_2addr_b64 v6, v[29:30], v[31:32] offset1:1
	v_add_nc_u32_e32 v6, 0x440, v6
	s_and_not1_b32 exec_lo, exec_lo, s44
	s_cbranch_execz .LBB24_27
.LBB24_31:                              ;   Parent Loop BB24_12 Depth=1
                                        ;     Parent Loop BB24_28 Depth=2
                                        ; =>    This Inner Loop Header: Depth=3
	s_and_b32 vcc_lo, exec_lo, s29
	s_cbranch_vccz .LBB24_33
; %bb.32:                               ;   in Loop: Header=BB24_31 Depth=3
	v_add_nc_u32_e32 v8, s8, v7
	s_delay_alu instid0(VALU_DEP_1)
	v_mad_u64_u32 v[2:3], null, v8, s23, v[1:2]
	s_cbranch_execnz .LBB24_30
	s_branch .LBB24_34
	.p2align	6
.LBB24_33:                              ;   in Loop: Header=BB24_31 Depth=3
                                        ; implicit-def: $vgpr2
.LBB24_34:                              ;   in Loop: Header=BB24_31 Depth=3
	v_add_nc_u32_e32 v2, v4, v7
	s_branch .LBB24_30
.LBB24_35:                              ;   in Loop: Header=BB24_12 Depth=1
	s_set_inst_prefetch_distance 0x2
	s_or_b32 exec_lo, exec_lo, s6
	s_delay_alu instid0(SALU_CYCLE_1)
	s_and_not1_b32 vcc_lo, exec_lo, s33
	s_waitcnt lgkmcnt(0)
	buffer_gl0_inv
	s_cbranch_vccnz .LBB24_46
; %bb.36:                               ;   in Loop: Header=BB24_12 Depth=1
	v_dual_mov_b32 v29, v26 :: v_dual_mov_b32 v30, v25
	s_mov_b32 s8, 0
	s_branch .LBB24_38
.LBB24_37:                              ;   in Loop: Header=BB24_38 Depth=2
	s_or_b32 exec_lo, exec_lo, s9
	v_add_nc_u32_e32 v30, 0x110, v30
	v_add_nc_u32_e32 v29, 0x120, v29
	s_add_i32 s8, s8, 1
	s_waitcnt lgkmcnt(0)
	buffer_gl0_inv
	s_cmp_eq_u32 s8, s23
	s_cbranch_scc1 .LBB24_46
.LBB24_38:                              ;   Parent Loop BB24_12 Depth=1
                                        ; =>  This Loop Header: Depth=2
                                        ;       Child Loop BB24_41 Depth 3
                                        ;         Child Loop BB24_45 Depth 4
	s_and_saveexec_b32 s9, s0
	s_cbranch_execz .LBB24_37
; %bb.39:                               ;   in Loop: Header=BB24_38 Depth=2
	s_lshl_b32 s6, s8, 4
	s_mul_i32 s43, s8, 0x110
	s_mov_b32 s44, 0
	s_add_i32 s6, s43, s6
	s_delay_alu instid0(SALU_CYCLE_1) | instskip(SKIP_3) | instid1(VALU_DEP_1)
	v_mov_b32_e32 v1, s6
	ds_load_b128 v[1:4], v1
	s_waitcnt lgkmcnt(0)
	v_mul_f64 v[5:6], v[3:4], v[3:4]
	v_fma_f64 v[5:6], v[1:2], v[1:2], v[5:6]
	s_delay_alu instid0(VALU_DEP_1) | instskip(NEXT) | instid1(VALU_DEP_1)
	v_div_scale_f64 v[7:8], null, v[5:6], v[5:6], 1.0
	v_rcp_f64_e32 v[15:16], v[7:8]
	s_waitcnt_depctr 0xfff
	v_fma_f64 v[31:32], -v[7:8], v[15:16], 1.0
	s_delay_alu instid0(VALU_DEP_1) | instskip(NEXT) | instid1(VALU_DEP_1)
	v_fma_f64 v[15:16], v[15:16], v[31:32], v[15:16]
	v_fma_f64 v[31:32], -v[7:8], v[15:16], 1.0
	s_delay_alu instid0(VALU_DEP_1) | instskip(SKIP_1) | instid1(VALU_DEP_1)
	v_fma_f64 v[15:16], v[15:16], v[31:32], v[15:16]
	v_div_scale_f64 v[31:32], vcc_lo, 1.0, v[5:6], 1.0
	v_mul_f64 v[33:34], v[31:32], v[15:16]
	s_delay_alu instid0(VALU_DEP_1) | instskip(SKIP_1) | instid1(VALU_DEP_2)
	v_fma_f64 v[7:8], -v[7:8], v[33:34], v[31:32]
	v_dual_mov_b32 v32, v30 :: v_dual_add_nc_u32 v31, s8, v20
	v_div_fmas_f64 v[7:8], v[7:8], v[15:16], v[33:34]
	s_delay_alu instid0(VALU_DEP_2) | instskip(SKIP_1) | instid1(VALU_DEP_3)
	v_cmp_gt_i32_e32 vcc_lo, s23, v31
	v_mov_b32_e32 v33, v11
	v_div_fixup_f64 v[15:16], v[7:8], v[5:6], 1.0
	s_branch .LBB24_41
.LBB24_40:                              ;   in Loop: Header=BB24_41 Depth=3
	s_or_b32 exec_lo, exec_lo, s45
	v_add_nc_u32_e32 v33, 16, v33
	v_add_nc_u32_e32 v32, 0x100, v32
	s_delay_alu instid0(VALU_DEP_2) | instskip(NEXT) | instid1(VALU_DEP_1)
	v_cmp_le_i32_e64 s6, s23, v33
	s_or_b32 s44, s6, s44
	s_delay_alu instid0(SALU_CYCLE_1)
	s_and_not1_b32 exec_lo, exec_lo, s44
	s_cbranch_execz .LBB24_37
.LBB24_41:                              ;   Parent Loop BB24_12 Depth=1
                                        ;     Parent Loop BB24_38 Depth=2
                                        ; =>    This Loop Header: Depth=3
                                        ;         Child Loop BB24_45 Depth 4
	s_delay_alu instid0(VALU_DEP_2)
	v_lshl_add_u32 v34, v33, 4, s43
	ds_load_b128 v[5:8], v34 offset:4352
	s_waitcnt lgkmcnt(0)
	buffer_gl0_inv
	v_mul_f64 v[35:36], v[3:4], v[7:8]
	v_mul_f64 v[37:38], v[3:4], -v[5:6]
	s_delay_alu instid0(VALU_DEP_2) | instskip(NEXT) | instid1(VALU_DEP_2)
	v_fma_f64 v[5:6], v[5:6], v[1:2], v[35:36]
	v_fma_f64 v[7:8], v[7:8], v[1:2], v[37:38]
	s_delay_alu instid0(VALU_DEP_2) | instskip(NEXT) | instid1(VALU_DEP_2)
	v_mul_f64 v[5:6], v[15:16], v[5:6]
	v_mul_f64 v[7:8], v[15:16], v[7:8]
	s_and_saveexec_b32 s6, s3
	s_cbranch_execz .LBB24_43
; %bb.42:                               ;   in Loop: Header=BB24_41 Depth=3
	v_add_nc_u32_e32 v34, 0x1100, v34
	ds_store_b128 v34, v[5:8]
.LBB24_43:                              ;   in Loop: Header=BB24_41 Depth=3
	s_or_b32 exec_lo, exec_lo, s6
	s_and_saveexec_b32 s45, vcc_lo
	s_cbranch_execz .LBB24_40
; %bb.44:                               ;   in Loop: Header=BB24_41 Depth=3
	v_dual_mov_b32 v34, v29 :: v_dual_mov_b32 v35, v32
	v_mov_b32_e32 v36, v31
	s_mov_b32 s46, 0
	.p2align	6
.LBB24_45:                              ;   Parent Loop BB24_12 Depth=1
                                        ;     Parent Loop BB24_38 Depth=2
                                        ;       Parent Loop BB24_41 Depth=3
                                        ; =>      This Inner Loop Header: Depth=4
	ds_load_b128 v[37:40], v34
	ds_load_b128 v[41:44], v35
	v_add_nc_u32_e32 v36, 4, v36
	v_add_nc_u32_e32 v34, 0x440, v34
	s_delay_alu instid0(VALU_DEP_2) | instskip(NEXT) | instid1(VALU_DEP_1)
	v_cmp_le_i32_e64 s6, s23, v36
	s_or_b32 s46, s6, s46
	s_waitcnt lgkmcnt(0)
	v_fma_f64 v[41:42], -v[5:6], v[37:38], v[41:42]
	v_fma_f64 v[43:44], -v[7:8], v[37:38], v[43:44]
	s_delay_alu instid0(VALU_DEP_2) | instskip(NEXT) | instid1(VALU_DEP_2)
	v_fma_f64 v[37:38], v[7:8], v[39:40], v[41:42]
	v_fma_f64 v[39:40], -v[5:6], v[39:40], v[43:44]
	ds_store_b128 v35, v[37:40]
	v_add_nc_u32_e32 v35, 0x440, v35
	s_and_not1_b32 exec_lo, exec_lo, s46
	s_cbranch_execnz .LBB24_45
	s_branch .LBB24_40
.LBB24_46:                              ;   in Loop: Header=BB24_12 Depth=1
	s_and_saveexec_b32 s8, s0
	s_cbranch_execz .LBB24_56
; %bb.47:                               ;   in Loop: Header=BB24_12 Depth=1
	v_dual_mov_b32 v4, v24 :: v_dual_mov_b32 v5, v22
	v_mov_b32_e32 v1, v11
	s_mul_i32 s9, s34, s23
	s_mov_b32 s43, 0
	s_set_inst_prefetch_distance 0x1
	s_branch .LBB24_49
	.p2align	6
.LBB24_48:                              ;   in Loop: Header=BB24_49 Depth=2
	s_or_b32 exec_lo, exec_lo, s44
	v_add_nc_u32_e32 v1, 16, v1
	v_add_nc_u32_e32 v5, s41, v5
	;; [unrolled: 1-line block ×3, first 2 shown]
	s_delay_alu instid0(VALU_DEP_3) | instskip(SKIP_1) | instid1(SALU_CYCLE_1)
	v_cmp_le_i32_e32 vcc_lo, s23, v1
	s_or_b32 s43, vcc_lo, s43
	s_and_not1_b32 exec_lo, exec_lo, s43
	s_cbranch_execz .LBB24_56
.LBB24_49:                              ;   Parent Loop BB24_12 Depth=1
                                        ; =>  This Loop Header: Depth=2
                                        ;       Child Loop BB24_52 Depth 3
	s_and_saveexec_b32 s44, s2
	s_cbranch_execz .LBB24_48
; %bb.50:                               ;   in Loop: Header=BB24_49 Depth=2
	v_dual_mov_b32 v6, v4 :: v_dual_mov_b32 v7, v19
	s_mov_b32 s45, 0
	s_branch .LBB24_52
	.p2align	6
.LBB24_51:                              ;   in Loop: Header=BB24_52 Depth=3
	ds_load_2addr_b64 v[29:32], v6 offset1:1
	v_ashrrev_i32_e32 v3, 31, v2
	v_add_nc_u32_e32 v7, 4, v7
	v_add_nc_u32_e32 v6, 0x440, v6
	s_delay_alu instid0(VALU_DEP_3) | instskip(NEXT) | instid1(VALU_DEP_3)
	v_lshlrev_b64 v[2:3], 4, v[2:3]
	v_cmp_le_i32_e32 vcc_lo, s23, v7
	s_or_b32 s45, vcc_lo, s45
	s_delay_alu instid0(VALU_DEP_2) | instskip(NEXT) | instid1(VALU_DEP_1)
	v_add_co_u32 v2, s6, s12, v2
	v_add_co_ci_u32_e64 v3, s6, s13, v3, s6
	s_waitcnt lgkmcnt(0)
	global_store_b128 v[2:3], v[29:32], off
	s_and_not1_b32 exec_lo, exec_lo, s45
	s_cbranch_execz .LBB24_48
.LBB24_52:                              ;   Parent Loop BB24_12 Depth=1
                                        ;     Parent Loop BB24_49 Depth=2
                                        ; =>    This Inner Loop Header: Depth=3
	s_and_b32 vcc_lo, exec_lo, s29
	s_cbranch_vccz .LBB24_54
; %bb.53:                               ;   in Loop: Header=BB24_52 Depth=3
	v_add_nc_u32_e32 v8, s9, v7
	s_delay_alu instid0(VALU_DEP_1)
	v_mad_u64_u32 v[2:3], null, v8, s23, v[1:2]
	s_cbranch_execnz .LBB24_51
	s_branch .LBB24_55
	.p2align	6
.LBB24_54:                              ;   in Loop: Header=BB24_52 Depth=3
                                        ; implicit-def: $vgpr2
.LBB24_55:                              ;   in Loop: Header=BB24_52 Depth=3
	v_add_nc_u32_e32 v2, v5, v7
	s_branch .LBB24_51
.LBB24_56:                              ;   in Loop: Header=BB24_12 Depth=1
	s_set_inst_prefetch_distance 0x2
	s_or_b32 exec_lo, exec_lo, s8
	s_sub_i32 s6, s42, s24
	s_add_i32 s8, s35, 1
	s_delay_alu instid0(SALU_CYCLE_1)
	s_cmp_ge_i32 s8, s6
	s_cbranch_scc1 .LBB24_11
; %bb.57:                               ;   in Loop: Header=BB24_12 Depth=1
	v_mad_u64_u32 v[1:2], null, s23, s8, v[11:12]
	s_delay_alu instid0(VALU_DEP_1)
	v_mul_lo_u32 v8, s23, v1
	s_branch .LBB24_61
.LBB24_58:                              ;   in Loop: Header=BB24_61 Depth=2
	s_or_b32 exec_lo, exec_lo, s35
.LBB24_59:                              ;   in Loop: Header=BB24_61 Depth=2
	s_delay_alu instid0(SALU_CYCLE_1)
	s_or_b32 exec_lo, exec_lo, s9
.LBB24_60:                              ;   in Loop: Header=BB24_61 Depth=2
	v_add_nc_u32_e32 v8, s40, v8
	s_add_i32 s8, s8, 1
	s_waitcnt lgkmcnt(0)
	s_waitcnt_vscnt null, 0x0
	buffer_gl0_inv
	s_cmp_lt_i32 s8, s6
	s_cbranch_scc0 .LBB24_11
.LBB24_61:                              ;   Parent Loop BB24_12 Depth=1
                                        ; =>  This Loop Header: Depth=2
                                        ;       Child Loop BB24_66 Depth 3
                                        ;       Child Loop BB24_75 Depth 3
                                        ;         Child Loop BB24_78 Depth 4
                                        ;       Child Loop BB24_84 Depth 3
                                        ;         Child Loop BB24_87 Depth 4
                                        ;           Child Loop BB24_88 Depth 5
	s_ashr_i32 s9, s8, 31
	v_mov_b32_e32 v2, s31
	s_lshl_b64 s[42:43], s[8:9], 2
	s_delay_alu instid0(SALU_CYCLE_1)
	s_add_u32 s42, s10, s42
	s_addc_u32 s43, s11, s43
	global_load_b32 v1, v28, s[42:43]
	s_and_saveexec_b32 s9, s4
	s_cbranch_execz .LBB24_63
; %bb.62:                               ;   in Loop: Header=BB24_61 Depth=2
	global_load_b32 v2, v[13:14], off
	s_waitcnt vmcnt(0)
	v_subrev_nc_u32_e32 v2, s24, v2
.LBB24_63:                              ;   in Loop: Header=BB24_61 Depth=2
	s_or_b32 exec_lo, exec_lo, s9
	s_waitcnt vmcnt(0)
	v_subrev_nc_u32_e32 v3, s24, v1
	v_mov_b32_e32 v4, v12
	s_mov_b32 s9, exec_lo
	s_delay_alu instid0(VALU_DEP_2)
	v_cmpx_lt_i32_e64 v2, v3
	s_cbranch_execz .LBB24_69
; %bb.64:                               ;   in Loop: Header=BB24_61 Depth=2
	v_mov_b32_e32 v1, v12
	s_mov_b32 s35, 0
	s_branch .LBB24_66
	.p2align	6
.LBB24_65:                              ;   in Loop: Header=BB24_66 Depth=3
	s_or_b32 exec_lo, exec_lo, s42
	s_delay_alu instid0(VALU_DEP_1) | instskip(SKIP_2) | instid1(SALU_CYCLE_1)
	v_cmp_ge_i32_e32 vcc_lo, v2, v3
	v_mov_b32_e32 v1, v4
	s_or_b32 s35, vcc_lo, s35
	s_and_not1_b32 exec_lo, exec_lo, s35
	s_cbranch_execz .LBB24_68
.LBB24_66:                              ;   Parent Loop BB24_12 Depth=1
                                        ;     Parent Loop BB24_61 Depth=2
                                        ; =>    This Inner Loop Header: Depth=3
	s_delay_alu instid0(VALU_DEP_1) | instskip(SKIP_2) | instid1(VALU_DEP_2)
	v_add_nc_u32_e32 v4, 64, v1
	v_mov_b32_e32 v2, s31
	s_mov_b32 s42, exec_lo
	v_cmpx_gt_i32_e64 s25, v4
	s_cbranch_execz .LBB24_65
; %bb.67:                               ;   in Loop: Header=BB24_66 Depth=3
	v_ashrrev_i32_e32 v2, 31, v1
	s_delay_alu instid0(VALU_DEP_1) | instskip(NEXT) | instid1(VALU_DEP_1)
	v_lshlrev_b64 v[1:2], 2, v[1:2]
	v_add_co_u32 v1, vcc_lo, s38, v1
	s_delay_alu instid0(VALU_DEP_2)
	v_add_co_ci_u32_e32 v2, vcc_lo, s39, v2, vcc_lo
	global_load_b32 v1, v[1:2], off
	s_waitcnt vmcnt(0)
	v_subrev_nc_u32_e32 v2, s24, v1
	s_branch .LBB24_65
.LBB24_68:                              ;   in Loop: Header=BB24_61 Depth=2
	s_or_b32 exec_lo, exec_lo, s35
.LBB24_69:                              ;   in Loop: Header=BB24_61 Depth=2
	s_delay_alu instid0(SALU_CYCLE_1)
	s_or_b32 exec_lo, exec_lo, s9
	v_cmp_eq_u32_e32 vcc_lo, v2, v3
	s_cbranch_vccz .LBB24_60
; %bb.70:                               ;   in Loop: Header=BB24_61 Depth=2
	s_ctz_i32_b32 s9, vcc_lo
	s_delay_alu instid0(SALU_CYCLE_1) | instskip(NEXT) | instid1(SALU_CYCLE_1)
	s_lshl_b32 s9, s9, 2
	v_mov_b32_e32 v1, s9
	ds_bpermute_b32 v4, v1, v4
	s_and_saveexec_b32 s9, s1
	s_delay_alu instid0(SALU_CYCLE_1)
	s_xor_b32 s9, exec_lo, s9
	s_cbranch_execz .LBB24_72
; %bb.71:                               ;   in Loop: Header=BB24_61 Depth=2
	s_waitcnt lgkmcnt(0)
	s_waitcnt_vscnt null, 0x0
	buffer_gl0_inv
                                        ; implicit-def: $vgpr4
.LBB24_72:                              ;   in Loop: Header=BB24_61 Depth=2
	s_and_not1_saveexec_b32 s9, s9
	s_cbranch_execz .LBB24_59
; %bb.73:                               ;   in Loop: Header=BB24_61 Depth=2
	v_dual_mov_b32 v5, v21 :: v_dual_mov_b32 v6, v8
	v_mov_b32_e32 v1, v11
	s_mul_i32 s42, s8, s23
	s_mov_b32 s35, 0
	s_set_inst_prefetch_distance 0x1
	s_branch .LBB24_75
	.p2align	6
.LBB24_74:                              ;   in Loop: Header=BB24_75 Depth=3
	s_or_b32 exec_lo, exec_lo, s43
	v_add_nc_u32_e32 v1, 16, v1
	v_add_nc_u32_e32 v6, s41, v6
	;; [unrolled: 1-line block ×3, first 2 shown]
	s_delay_alu instid0(VALU_DEP_3) | instskip(SKIP_1) | instid1(SALU_CYCLE_1)
	v_cmp_le_i32_e32 vcc_lo, s23, v1
	s_or_b32 s35, vcc_lo, s35
	s_and_not1_b32 exec_lo, exec_lo, s35
	s_cbranch_execz .LBB24_82
.LBB24_75:                              ;   Parent Loop BB24_12 Depth=1
                                        ;     Parent Loop BB24_61 Depth=2
                                        ; =>    This Loop Header: Depth=3
                                        ;         Child Loop BB24_78 Depth 4
	s_and_saveexec_b32 s43, s2
	s_cbranch_execz .LBB24_74
; %bb.76:                               ;   in Loop: Header=BB24_75 Depth=3
	v_mov_b32_e32 v7, v5
	v_mov_b32_e32 v15, v19
	s_mov_b32 s44, 0
	s_branch .LBB24_78
	.p2align	6
.LBB24_77:                              ;   in Loop: Header=BB24_78 Depth=4
	s_delay_alu instid0(VALU_DEP_1) | instskip(SKIP_1) | instid1(VALU_DEP_2)
	v_ashrrev_i32_e32 v3, 31, v2
	v_add_nc_u32_e32 v15, 4, v15
	v_lshlrev_b64 v[2:3], 4, v[2:3]
	s_delay_alu instid0(VALU_DEP_1) | instskip(NEXT) | instid1(VALU_DEP_2)
	v_add_co_u32 v2, vcc_lo, s12, v2
	v_add_co_ci_u32_e32 v3, vcc_lo, s13, v3, vcc_lo
	s_delay_alu instid0(VALU_DEP_4)
	v_cmp_le_i32_e32 vcc_lo, s23, v15
	global_load_b128 v[29:32], v[2:3], off
	s_or_b32 s44, vcc_lo, s44
	s_waitcnt vmcnt(0)
	ds_store_2addr_b64 v7, v[29:30], v[31:32] offset1:1
	v_add_nc_u32_e32 v7, 0x440, v7
	s_and_not1_b32 exec_lo, exec_lo, s44
	s_cbranch_execz .LBB24_74
.LBB24_78:                              ;   Parent Loop BB24_12 Depth=1
                                        ;     Parent Loop BB24_61 Depth=2
                                        ;       Parent Loop BB24_75 Depth=3
                                        ; =>      This Inner Loop Header: Depth=4
	s_and_b32 vcc_lo, exec_lo, s29
	s_cbranch_vccz .LBB24_80
; %bb.79:                               ;   in Loop: Header=BB24_78 Depth=4
	v_add_nc_u32_e32 v16, s42, v15
	s_delay_alu instid0(VALU_DEP_1)
	v_mad_u64_u32 v[2:3], null, v16, s23, v[1:2]
	s_cbranch_execnz .LBB24_77
	s_branch .LBB24_81
	.p2align	6
.LBB24_80:                              ;   in Loop: Header=BB24_78 Depth=4
                                        ; implicit-def: $vgpr2
.LBB24_81:                              ;   in Loop: Header=BB24_78 Depth=4
	v_add_nc_u32_e32 v2, v6, v15
	s_branch .LBB24_77
.LBB24_82:                              ;   in Loop: Header=BB24_61 Depth=2
	s_set_inst_prefetch_distance 0x2
	s_or_b32 exec_lo, exec_lo, s35
	s_waitcnt lgkmcnt(0)
	v_mul_lo_u32 v15, v4, s23
	v_mov_b32_e32 v16, v27
	v_mov_b32_e32 v1, v11
	s_mov_b32 s35, 0
	s_waitcnt_vscnt null, 0x0
	buffer_gl0_inv
	s_branch .LBB24_84
.LBB24_83:                              ;   in Loop: Header=BB24_84 Depth=3
	s_or_b32 exec_lo, exec_lo, s42
	v_add_nc_u32_e32 v1, 16, v1
	v_add_nc_u32_e32 v16, 0x100, v16
	s_delay_alu instid0(VALU_DEP_2) | instskip(SKIP_1) | instid1(SALU_CYCLE_1)
	v_cmp_le_i32_e32 vcc_lo, s23, v1
	s_or_b32 s35, vcc_lo, s35
	s_and_not1_b32 exec_lo, exec_lo, s35
	s_cbranch_execz .LBB24_58
.LBB24_84:                              ;   Parent Loop BB24_12 Depth=1
                                        ;     Parent Loop BB24_61 Depth=2
                                        ; =>    This Loop Header: Depth=3
                                        ;         Child Loop BB24_87 Depth 4
                                        ;           Child Loop BB24_88 Depth 5
	s_and_saveexec_b32 s42, s2
	s_cbranch_execz .LBB24_83
; %bb.85:                               ;   in Loop: Header=BB24_84 Depth=3
	v_dual_mov_b32 v31, v19 :: v_dual_add_nc_u32 v2, v1, v15
	v_mov_b32_e32 v30, v23
	s_mov_b32 s43, 0
	s_delay_alu instid0(VALU_DEP_2)
	v_mul_lo_u32 v29, v2, s23
	s_branch .LBB24_87
.LBB24_86:                              ;   in Loop: Header=BB24_87 Depth=4
	s_delay_alu instid0(VALU_DEP_1) | instskip(SKIP_2) | instid1(VALU_DEP_3)
	v_ashrrev_i32_e32 v7, 31, v6
	v_add_nc_u32_e32 v31, 4, v31
	v_add_nc_u32_e32 v30, 0x440, v30
	v_lshlrev_b64 v[6:7], 4, v[6:7]
	s_delay_alu instid0(VALU_DEP_1) | instskip(NEXT) | instid1(VALU_DEP_2)
	v_add_co_u32 v6, vcc_lo, s12, v6
	v_add_co_ci_u32_e32 v7, vcc_lo, s13, v7, vcc_lo
	v_cmp_le_i32_e32 vcc_lo, s23, v31
	global_load_b128 v[32:35], v[6:7], off
	s_or_b32 s43, vcc_lo, s43
	s_waitcnt vmcnt(0)
	v_add_f64 v[2:3], v[32:33], -v[2:3]
	v_add_f64 v[4:5], v[34:35], -v[4:5]
	global_store_b128 v[6:7], v[2:5], off
	s_and_not1_b32 exec_lo, exec_lo, s43
	s_cbranch_execz .LBB24_83
.LBB24_87:                              ;   Parent Loop BB24_12 Depth=1
                                        ;     Parent Loop BB24_61 Depth=2
                                        ;       Parent Loop BB24_84 Depth=3
                                        ; =>      This Loop Header: Depth=4
                                        ;           Child Loop BB24_88 Depth 5
	s_delay_alu instid0(VALU_DEP_2) | instskip(SKIP_2) | instid1(VALU_DEP_1)
	v_dual_mov_b32 v2, 0 :: v_dual_mov_b32 v7, v30
	v_dual_mov_b32 v3, 0 :: v_dual_mov_b32 v6, v16
	s_mov_b32 s44, s23
	v_dual_mov_b32 v5, v3 :: v_dual_mov_b32 v4, v2
	.p2align	6
.LBB24_88:                              ;   Parent Loop BB24_12 Depth=1
                                        ;     Parent Loop BB24_61 Depth=2
                                        ;       Parent Loop BB24_84 Depth=3
                                        ;         Parent Loop BB24_87 Depth=4
                                        ; =>        This Inner Loop Header: Depth=5
	ds_load_b128 v[32:35], v6
	ds_load_b128 v[36:39], v7
	v_add_nc_u32_e32 v7, 16, v7
	v_add_nc_u32_e32 v6, 0x110, v6
	s_add_i32 s44, s44, -1
	s_delay_alu instid0(SALU_CYCLE_1) | instskip(SKIP_3) | instid1(VALU_DEP_2)
	s_cmp_eq_u32 s44, 0
	s_waitcnt lgkmcnt(0)
	v_fma_f64 v[2:3], v[32:33], v[36:37], v[2:3]
	v_fma_f64 v[4:5], v[34:35], v[36:37], v[4:5]
	v_fma_f64 v[2:3], -v[34:35], v[38:39], v[2:3]
	s_delay_alu instid0(VALU_DEP_2)
	v_fma_f64 v[4:5], v[32:33], v[38:39], v[4:5]
	s_cbranch_scc0 .LBB24_88
; %bb.89:                               ;   in Loop: Header=BB24_87 Depth=4
	s_and_b32 vcc_lo, exec_lo, s29
	s_cbranch_vccz .LBB24_91
; %bb.90:                               ;   in Loop: Header=BB24_87 Depth=4
	v_add_nc_u32_e32 v32, v31, v15
	s_delay_alu instid0(VALU_DEP_1)
	v_mad_u64_u32 v[6:7], null, v32, s23, v[1:2]
	s_cbranch_execnz .LBB24_86
	s_branch .LBB24_92
.LBB24_91:                              ;   in Loop: Header=BB24_87 Depth=4
                                        ; implicit-def: $vgpr6
.LBB24_92:                              ;   in Loop: Header=BB24_87 Depth=4
	v_add_nc_u32_e32 v6, v31, v29
	s_branch .LBB24_86
.LBB24_93:
	s_ashr_i32 s29, s28, 31
	v_mov_b32_e32 v1, 0
	s_lshl_b64 s[0:1], s[28:29], 2
	s_delay_alu instid0(SALU_CYCLE_1) | instskip(SKIP_4) | instid1(VALU_DEP_1)
	s_add_u32 s0, s10, s0
	s_addc_u32 s1, s11, s1
	global_load_b32 v1, v1, s[0:1]
	s_waitcnt vmcnt(0)
	v_subrev_nc_u32_e32 v1, s24, v1
	v_cmp_ne_u32_e32 vcc_lo, s22, v1
	s_cbranch_vccnz .LBB24_105
; %bb.94:
	v_and_b32_e32 v5, 0x3ff, v0
	s_delay_alu instid0(VALU_DEP_1) | instskip(SKIP_1) | instid1(VALU_DEP_2)
	v_cmp_gt_i32_e64 s0, s23, v5
	v_lshlrev_b32_e32 v15, 4, v5
	s_and_saveexec_b32 s2, s0
	s_cbranch_execz .LBB24_106
; %bb.95:
	s_mul_i32 s3, s28, s23
	v_bfe_u32 v4, v0, 10, 10
	v_add_nc_u32_e32 v1, s3, v5
	v_lshlrev_b32_e32 v2, 4, v5
	s_cmp_lg_u32 s30, 0
	s_mov_b32 s4, 0
	v_cmp_gt_u32_e64 s1, s23, v4
	v_mul_lo_u32 v6, s23, v1
	v_mov_b32_e32 v1, v5
	v_mad_u32_u24 v7, 0x110, v4, v2
	s_cselect_b32 s5, -1, 0
	s_lshl_b32 s6, s23, 4
	s_set_inst_prefetch_distance 0x1
	s_branch .LBB24_97
	.p2align	6
.LBB24_96:                              ;   in Loop: Header=BB24_97 Depth=1
	s_or_b32 exec_lo, exec_lo, s8
	v_add_nc_u32_e32 v1, 16, v1
	v_add_nc_u32_e32 v6, s6, v6
	;; [unrolled: 1-line block ×3, first 2 shown]
	s_delay_alu instid0(VALU_DEP_3) | instskip(SKIP_1) | instid1(SALU_CYCLE_1)
	v_cmp_le_i32_e32 vcc_lo, s23, v1
	s_or_b32 s4, vcc_lo, s4
	s_and_not1_b32 exec_lo, exec_lo, s4
	s_cbranch_execz .LBB24_106
.LBB24_97:                              ; =>This Loop Header: Depth=1
                                        ;     Child Loop BB24_100 Depth 2
	s_and_saveexec_b32 s8, s1
	s_cbranch_execz .LBB24_96
; %bb.98:                               ;   in Loop: Header=BB24_97 Depth=1
	v_dual_mov_b32 v8, v7 :: v_dual_mov_b32 v11, v4
	s_mov_b32 s9, 0
	s_branch .LBB24_100
	.p2align	6
.LBB24_99:                              ;   in Loop: Header=BB24_100 Depth=2
	s_delay_alu instid0(VALU_DEP_1) | instskip(SKIP_1) | instid1(VALU_DEP_2)
	v_ashrrev_i32_e32 v3, 31, v2
	v_add_nc_u32_e32 v11, 4, v11
	v_lshlrev_b64 v[2:3], 4, v[2:3]
	s_delay_alu instid0(VALU_DEP_1) | instskip(NEXT) | instid1(VALU_DEP_2)
	v_add_co_u32 v2, vcc_lo, s12, v2
	v_add_co_ci_u32_e32 v3, vcc_lo, s13, v3, vcc_lo
	s_delay_alu instid0(VALU_DEP_4)
	v_cmp_le_i32_e32 vcc_lo, s23, v11
	global_load_b128 v[19:22], v[2:3], off
	s_or_b32 s9, vcc_lo, s9
	s_waitcnt vmcnt(0)
	ds_store_2addr_b64 v8, v[19:20], v[21:22] offset1:1
	v_add_nc_u32_e32 v8, 0x440, v8
	s_and_not1_b32 exec_lo, exec_lo, s9
	s_cbranch_execz .LBB24_96
.LBB24_100:                             ;   Parent Loop BB24_97 Depth=1
                                        ; =>  This Inner Loop Header: Depth=2
	s_and_b32 vcc_lo, exec_lo, s5
	s_cbranch_vccz .LBB24_102
; %bb.101:                              ;   in Loop: Header=BB24_100 Depth=2
	v_add_nc_u32_e32 v12, s3, v11
	s_delay_alu instid0(VALU_DEP_1)
	v_mad_u64_u32 v[2:3], null, v12, s23, v[1:2]
	s_cbranch_execnz .LBB24_99
	s_branch .LBB24_103
	.p2align	6
.LBB24_102:                             ;   in Loop: Header=BB24_100 Depth=2
                                        ; implicit-def: $vgpr2
.LBB24_103:                             ;   in Loop: Header=BB24_100 Depth=2
	v_add_nc_u32_e32 v2, v6, v11
	s_branch .LBB24_99
.LBB24_104:
	s_mov_b32 s4, -1
	s_branch .LBB24_177
.LBB24_105:
	s_mov_b32 s4, s7
	s_add_i32 s3, s28, 1
	s_delay_alu instid0(SALU_CYCLE_1)
	s_cmp_ge_i32 s3, s25
	s_cbranch_scc0 .LBB24_145
	s_branch .LBB24_177
.LBB24_106:
	s_set_inst_prefetch_distance 0x2
	s_or_b32 exec_lo, exec_lo, s2
	s_cmp_lt_i32 s23, 1
	s_waitcnt lgkmcnt(0)
	s_waitcnt_vscnt null, 0x0
	buffer_gl0_inv
	s_cbranch_scc1 .LBB24_134
; %bb.107:
	v_cvt_f64_f32_e32 v[1:2], v18
	v_bfe_u32 v16, v0, 10, 10
	s_cmp_eq_u64 s[16:17], 8
	s_mov_b32 s5, 0
	s_cselect_b32 vcc_lo, -1, 0
	v_mov_b32_e32 v19, 0
	v_or_b32_e32 v3, v5, v16
	v_cmp_eq_u32_e64 s1, 0, v16
	v_mad_u32_u24 v6, 0x110, v16, 0x110
                                        ; implicit-def: $sgpr4
	v_mov_b32_e32 v18, 16
	s_delay_alu instid0(VALU_DEP_4)
	v_cmp_eq_u32_e64 s2, 0, v3
	v_dual_cndmask_b32 v8, v2, v10 :: v_dual_cndmask_b32 v7, v1, v9
	s_branch .LBB24_109
.LBB24_108:                             ;   in Loop: Header=BB24_109 Depth=1
	s_or_b32 exec_lo, exec_lo, s3
	s_delay_alu instid0(VALU_DEP_1) | instskip(SKIP_4) | instid1(SALU_CYCLE_1)
	v_cmp_eq_u32_e32 vcc_lo, s23, v11
	v_mov_b32_e32 v19, v11
	s_or_b32 s5, vcc_lo, s5
	s_and_not1_b32 s3, s4, exec_lo
	s_and_b32 s4, s7, exec_lo
	s_or_b32 s4, s3, s4
	s_and_not1_b32 exec_lo, exec_lo, s5
	s_cbranch_execz .LBB24_133
.LBB24_109:                             ; =>This Loop Header: Depth=1
                                        ;     Child Loop BB24_126 Depth 2
                                        ;       Child Loop BB24_130 Depth 3
	v_mul_lo_u32 v20, 0x110, v19
	v_cmp_ne_u32_e32 vcc_lo, 1, v17
	s_mov_b32 s3, -1
	s_mov_b32 s8, 0
	s_and_b32 vcc_lo, exec_lo, vcc_lo
	s_delay_alu instid0(VALU_DEP_2)
	v_lshl_add_u32 v21, v19, 4, v20
	ds_load_2addr_b64 v[1:4], v21 offset1:1
	s_waitcnt lgkmcnt(0)
	scratch_store_b128 off, v[1:4], off offset:16
	s_cbranch_vccz .LBB24_113
; %bb.110:                              ;   in Loop: Header=BB24_109 Depth=1
	s_and_b32 vcc_lo, exec_lo, s3
	s_mov_b32 s6, 0
	s_cbranch_vccnz .LBB24_122
.LBB24_111:                             ;   in Loop: Header=BB24_109 Depth=1
                                        ; implicit-def: $vgpr11
	s_and_saveexec_b32 s3, s8
	s_delay_alu instid0(SALU_CYCLE_1)
	s_xor_b32 s8, exec_lo, s3
	s_cbranch_execnz .LBB24_123
.LBB24_112:                             ;   in Loop: Header=BB24_109 Depth=1
	s_or_b32 exec_lo, exec_lo, s8
	s_and_saveexec_b32 s3, s6
	s_cbranch_execz .LBB24_108
	s_branch .LBB24_132
.LBB24_113:                             ;   in Loop: Header=BB24_109 Depth=1
	v_cmp_gt_f64_e32 vcc_lo, 0, v[1:2]
	v_cmp_gt_f64_e64 s3, 0, v[3:4]
	v_xor_b32_e32 v9, 0x80000000, v2
	v_xor_b32_e32 v11, 0x80000000, v4
                                        ; implicit-def: $vgpr13_vgpr14
	s_delay_alu instid0(VALU_DEP_2) | instskip(NEXT) | instid1(VALU_DEP_2)
	v_cndmask_b32_e32 v10, v2, v9, vcc_lo
	v_cndmask_b32_e64 v12, v4, v11, s3
	v_cndmask_b32_e32 v9, v1, v1, vcc_lo
	v_cndmask_b32_e64 v11, v3, v3, s3
	s_mov_b32 s3, exec_lo
	s_delay_alu instid0(VALU_DEP_1)
	v_cmpx_ngt_f64_e32 v[9:10], v[11:12]
	s_xor_b32 s3, exec_lo, s3
	s_cbranch_execz .LBB24_117
; %bb.114:                              ;   in Loop: Header=BB24_109 Depth=1
	v_mov_b32_e32 v13, 0
	v_mov_b32_e32 v14, 0
	s_mov_b32 s6, exec_lo
	v_cmpx_neq_f64_e32 0, v[3:4]
	s_cbranch_execz .LBB24_116
; %bb.115:                              ;   in Loop: Header=BB24_109 Depth=1
	v_div_scale_f64 v[13:14], null, v[11:12], v[11:12], v[9:10]
	v_div_scale_f64 v[26:27], vcc_lo, v[9:10], v[11:12], v[9:10]
	s_delay_alu instid0(VALU_DEP_2) | instskip(SKIP_2) | instid1(VALU_DEP_1)
	v_rcp_f64_e32 v[22:23], v[13:14]
	s_waitcnt_depctr 0xfff
	v_fma_f64 v[24:25], -v[13:14], v[22:23], 1.0
	v_fma_f64 v[22:23], v[22:23], v[24:25], v[22:23]
	s_delay_alu instid0(VALU_DEP_1) | instskip(NEXT) | instid1(VALU_DEP_1)
	v_fma_f64 v[24:25], -v[13:14], v[22:23], 1.0
	v_fma_f64 v[22:23], v[22:23], v[24:25], v[22:23]
	s_delay_alu instid0(VALU_DEP_1) | instskip(NEXT) | instid1(VALU_DEP_1)
	v_mul_f64 v[24:25], v[26:27], v[22:23]
	v_fma_f64 v[13:14], -v[13:14], v[24:25], v[26:27]
	s_delay_alu instid0(VALU_DEP_1) | instskip(NEXT) | instid1(VALU_DEP_1)
	v_div_fmas_f64 v[13:14], v[13:14], v[22:23], v[24:25]
	v_div_fixup_f64 v[9:10], v[13:14], v[11:12], v[9:10]
	s_delay_alu instid0(VALU_DEP_1) | instskip(NEXT) | instid1(VALU_DEP_1)
	v_fma_f64 v[9:10], v[9:10], v[9:10], 1.0
	v_cmp_gt_f64_e32 vcc_lo, 0x10000000, v[9:10]
	v_cndmask_b32_e64 v13, 0, 1, vcc_lo
	s_delay_alu instid0(VALU_DEP_1) | instskip(NEXT) | instid1(VALU_DEP_1)
	v_lshlrev_b32_e32 v13, 8, v13
	v_ldexp_f64 v[9:10], v[9:10], v13
	s_delay_alu instid0(VALU_DEP_1) | instskip(SKIP_3) | instid1(VALU_DEP_1)
	v_rsq_f64_e32 v[13:14], v[9:10]
	s_waitcnt_depctr 0xfff
	v_mul_f64 v[22:23], v[9:10], v[13:14]
	v_mul_f64 v[13:14], v[13:14], 0.5
	v_fma_f64 v[24:25], -v[13:14], v[22:23], 0.5
	s_delay_alu instid0(VALU_DEP_1) | instskip(SKIP_1) | instid1(VALU_DEP_2)
	v_fma_f64 v[22:23], v[22:23], v[24:25], v[22:23]
	v_fma_f64 v[13:14], v[13:14], v[24:25], v[13:14]
	v_fma_f64 v[24:25], -v[22:23], v[22:23], v[9:10]
	s_delay_alu instid0(VALU_DEP_1) | instskip(NEXT) | instid1(VALU_DEP_1)
	v_fma_f64 v[22:23], v[24:25], v[13:14], v[22:23]
	v_fma_f64 v[24:25], -v[22:23], v[22:23], v[9:10]
	s_delay_alu instid0(VALU_DEP_1) | instskip(SKIP_2) | instid1(VALU_DEP_2)
	v_fma_f64 v[13:14], v[24:25], v[13:14], v[22:23]
	v_cndmask_b32_e64 v22, 0, 0xffffff80, vcc_lo
	v_cmp_class_f64_e64 vcc_lo, v[9:10], 0x260
	v_ldexp_f64 v[13:14], v[13:14], v22
	s_delay_alu instid0(VALU_DEP_1) | instskip(NEXT) | instid1(VALU_DEP_1)
	v_dual_cndmask_b32 v10, v14, v10 :: v_dual_cndmask_b32 v9, v13, v9
	v_mul_f64 v[13:14], v[11:12], v[9:10]
.LBB24_116:                             ;   in Loop: Header=BB24_109 Depth=1
	s_or_b32 exec_lo, exec_lo, s6
                                        ; implicit-def: $vgpr9_vgpr10
                                        ; implicit-def: $vgpr11_vgpr12
.LBB24_117:                             ;   in Loop: Header=BB24_109 Depth=1
	s_and_not1_saveexec_b32 s3, s3
	s_cbranch_execz .LBB24_119
; %bb.118:                              ;   in Loop: Header=BB24_109 Depth=1
	v_div_scale_f64 v[13:14], null, v[9:10], v[9:10], v[11:12]
	v_div_scale_f64 v[26:27], vcc_lo, v[11:12], v[9:10], v[11:12]
	s_delay_alu instid0(VALU_DEP_2) | instskip(SKIP_2) | instid1(VALU_DEP_1)
	v_rcp_f64_e32 v[22:23], v[13:14]
	s_waitcnt_depctr 0xfff
	v_fma_f64 v[24:25], -v[13:14], v[22:23], 1.0
	v_fma_f64 v[22:23], v[22:23], v[24:25], v[22:23]
	s_delay_alu instid0(VALU_DEP_1) | instskip(NEXT) | instid1(VALU_DEP_1)
	v_fma_f64 v[24:25], -v[13:14], v[22:23], 1.0
	v_fma_f64 v[22:23], v[22:23], v[24:25], v[22:23]
	s_delay_alu instid0(VALU_DEP_1) | instskip(NEXT) | instid1(VALU_DEP_1)
	v_mul_f64 v[24:25], v[26:27], v[22:23]
	v_fma_f64 v[13:14], -v[13:14], v[24:25], v[26:27]
	s_delay_alu instid0(VALU_DEP_1) | instskip(NEXT) | instid1(VALU_DEP_1)
	v_div_fmas_f64 v[13:14], v[13:14], v[22:23], v[24:25]
	v_div_fixup_f64 v[11:12], v[13:14], v[9:10], v[11:12]
	s_delay_alu instid0(VALU_DEP_1) | instskip(NEXT) | instid1(VALU_DEP_1)
	v_fma_f64 v[11:12], v[11:12], v[11:12], 1.0
	v_cmp_gt_f64_e32 vcc_lo, 0x10000000, v[11:12]
	v_cndmask_b32_e64 v13, 0, 1, vcc_lo
	s_delay_alu instid0(VALU_DEP_1) | instskip(NEXT) | instid1(VALU_DEP_1)
	v_lshlrev_b32_e32 v13, 8, v13
	v_ldexp_f64 v[11:12], v[11:12], v13
	s_delay_alu instid0(VALU_DEP_1) | instskip(SKIP_3) | instid1(VALU_DEP_1)
	v_rsq_f64_e32 v[13:14], v[11:12]
	s_waitcnt_depctr 0xfff
	v_mul_f64 v[22:23], v[11:12], v[13:14]
	v_mul_f64 v[13:14], v[13:14], 0.5
	v_fma_f64 v[24:25], -v[13:14], v[22:23], 0.5
	s_delay_alu instid0(VALU_DEP_1) | instskip(SKIP_1) | instid1(VALU_DEP_2)
	v_fma_f64 v[22:23], v[22:23], v[24:25], v[22:23]
	v_fma_f64 v[13:14], v[13:14], v[24:25], v[13:14]
	v_fma_f64 v[24:25], -v[22:23], v[22:23], v[11:12]
	s_delay_alu instid0(VALU_DEP_1) | instskip(NEXT) | instid1(VALU_DEP_1)
	v_fma_f64 v[22:23], v[24:25], v[13:14], v[22:23]
	v_fma_f64 v[24:25], -v[22:23], v[22:23], v[11:12]
	s_delay_alu instid0(VALU_DEP_1) | instskip(SKIP_2) | instid1(VALU_DEP_2)
	v_fma_f64 v[13:14], v[24:25], v[13:14], v[22:23]
	v_cndmask_b32_e64 v22, 0, 0xffffff80, vcc_lo
	v_cmp_class_f64_e64 vcc_lo, v[11:12], 0x260
	v_ldexp_f64 v[13:14], v[13:14], v22
	s_delay_alu instid0(VALU_DEP_1) | instskip(NEXT) | instid1(VALU_DEP_1)
	v_dual_cndmask_b32 v12, v14, v12 :: v_dual_cndmask_b32 v11, v13, v11
	v_mul_f64 v[13:14], v[9:10], v[11:12]
.LBB24_119:                             ;   in Loop: Header=BB24_109 Depth=1
	s_or_b32 exec_lo, exec_lo, s3
	s_delay_alu instid0(VALU_DEP_1)
	v_cmp_le_f64_e32 vcc_lo, v[13:14], v[7:8]
	v_cndmask_b32_e64 v9, v18, 0, vcc_lo
	scratch_load_b128 v[9:12], v9, off
	s_waitcnt vmcnt(0)
	scratch_store_b128 off, v[9:12], off offset:16
	s_waitcnt_vscnt null, 0x0
	buffer_gl0_inv
	s_and_saveexec_b32 s3, s2
	s_cbranch_execz .LBB24_121
; %bb.120:                              ;   in Loop: Header=BB24_109 Depth=1
	scratch_load_b128 v[9:12], off, off offset:16
	s_waitcnt vmcnt(0)
	ds_store_2addr_b64 v21, v[9:10], v[11:12] offset1:1
.LBB24_121:                             ;   in Loop: Header=BB24_109 Depth=1
	s_or_b32 exec_lo, exec_lo, s3
	s_mov_b32 s8, -1
	s_mov_b32 s6, 0
	s_branch .LBB24_111
.LBB24_122:                             ;   in Loop: Header=BB24_109 Depth=1
	v_cmp_neq_f64_e32 vcc_lo, 0, v[1:2]
	v_cmp_neq_f64_e64 s3, 0, v[3:4]
	s_and_not1_b32 s8, s8, exec_lo
	s_mov_b32 s6, -1
	s_delay_alu instid0(VALU_DEP_1) | instskip(NEXT) | instid1(SALU_CYCLE_1)
	s_or_b32 s3, vcc_lo, s3
	s_and_b32 s3, s3, exec_lo
	s_delay_alu instid0(SALU_CYCLE_1) | instskip(NEXT) | instid1(SALU_CYCLE_1)
	s_or_b32 s8, s8, s3
                                        ; implicit-def: $vgpr11
	s_and_saveexec_b32 s3, s8
	s_delay_alu instid0(SALU_CYCLE_1)
	s_xor_b32 s8, exec_lo, s3
	s_cbranch_execz .LBB24_112
.LBB24_123:                             ;   in Loop: Header=BB24_109 Depth=1
	v_add_nc_u32_e32 v11, 1, v19
	s_mov_b32 s9, exec_lo
	s_delay_alu instid0(VALU_DEP_1) | instskip(NEXT) | instid1(VALU_DEP_1)
	v_add_nc_u32_e32 v12, v11, v5
	v_cmpx_gt_i32_e64 s23, v12
	s_cbranch_execz .LBB24_131
; %bb.124:                              ;   in Loop: Header=BB24_109 Depth=1
	v_add_nc_u32_e32 v13, v11, v16
	v_mad_u64_u32 v[9:10], null, 0x120, v19, v[6:7]
	v_mov_b32_e32 v10, v15
	s_mov_b32 s10, 0
	s_delay_alu instid0(VALU_DEP_3)
	v_cmp_gt_i32_e64 s3, s23, v13
	s_branch .LBB24_126
.LBB24_125:                             ;   in Loop: Header=BB24_126 Depth=2
	s_or_b32 exec_lo, exec_lo, s11
	v_add_nc_u32_e32 v12, 16, v12
	v_add_nc_u32_e32 v10, 0x100, v10
	s_delay_alu instid0(VALU_DEP_2) | instskip(SKIP_1) | instid1(SALU_CYCLE_1)
	v_cmp_le_i32_e32 vcc_lo, s23, v12
	s_or_b32 s10, vcc_lo, s10
	s_and_not1_b32 exec_lo, exec_lo, s10
	s_cbranch_execz .LBB24_131
.LBB24_126:                             ;   Parent Loop BB24_109 Depth=1
                                        ; =>  This Loop Header: Depth=2
                                        ;       Child Loop BB24_130 Depth 3
	scratch_load_b128 v[1:4], off, off offset:16
	v_lshl_add_u32 v14, v12, 4, v20
	s_waitcnt vmcnt(0)
	v_mul_f64 v[21:22], v[3:4], v[3:4]
	s_delay_alu instid0(VALU_DEP_1) | instskip(NEXT) | instid1(VALU_DEP_1)
	v_fma_f64 v[25:26], v[1:2], v[1:2], v[21:22]
	v_div_scale_f64 v[21:22], null, v[25:26], v[25:26], 1.0
	v_div_scale_f64 v[29:30], vcc_lo, 1.0, v[25:26], 1.0
	s_delay_alu instid0(VALU_DEP_2) | instskip(SKIP_2) | instid1(VALU_DEP_1)
	v_rcp_f64_e32 v[23:24], v[21:22]
	s_waitcnt_depctr 0xfff
	v_fma_f64 v[27:28], -v[21:22], v[23:24], 1.0
	v_fma_f64 v[23:24], v[23:24], v[27:28], v[23:24]
	s_delay_alu instid0(VALU_DEP_1) | instskip(NEXT) | instid1(VALU_DEP_1)
	v_fma_f64 v[27:28], -v[21:22], v[23:24], 1.0
	v_fma_f64 v[27:28], v[23:24], v[27:28], v[23:24]
	s_delay_alu instid0(VALU_DEP_1) | instskip(NEXT) | instid1(VALU_DEP_1)
	v_mul_f64 v[31:32], v[29:30], v[27:28]
	v_fma_f64 v[29:30], -v[21:22], v[31:32], v[29:30]
	ds_load_b128 v[21:24], v14
	s_waitcnt lgkmcnt(0)
	s_waitcnt_vscnt null, 0x0
	buffer_gl0_inv
	v_mul_f64 v[33:34], v[23:24], v[3:4]
	v_mul_f64 v[3:4], v[3:4], -v[21:22]
	v_div_fmas_f64 v[27:28], v[29:30], v[27:28], v[31:32]
	s_delay_alu instid0(VALU_DEP_3) | instskip(NEXT) | instid1(VALU_DEP_3)
	v_fma_f64 v[21:22], v[21:22], v[1:2], v[33:34]
	v_fma_f64 v[3:4], v[23:24], v[1:2], v[3:4]
	s_delay_alu instid0(VALU_DEP_3) | instskip(NEXT) | instid1(VALU_DEP_1)
	v_div_fixup_f64 v[25:26], v[27:28], v[25:26], 1.0
	v_mul_f64 v[1:2], v[21:22], v[25:26]
	s_delay_alu instid0(VALU_DEP_3)
	v_mul_f64 v[3:4], v[3:4], v[25:26]
	s_and_saveexec_b32 s11, s1
	s_cbranch_execz .LBB24_128
; %bb.127:                              ;   in Loop: Header=BB24_126 Depth=2
	ds_store_b128 v14, v[1:4]
.LBB24_128:                             ;   in Loop: Header=BB24_126 Depth=2
	s_or_b32 exec_lo, exec_lo, s11
	s_and_saveexec_b32 s11, s3
	s_cbranch_execz .LBB24_125
; %bb.129:                              ;   in Loop: Header=BB24_126 Depth=2
	v_mov_b32_e32 v14, v9
	v_mov_b32_e32 v21, v13
	s_mov_b32 s14, 0
	.p2align	6
.LBB24_130:                             ;   Parent Loop BB24_109 Depth=1
                                        ;     Parent Loop BB24_126 Depth=2
                                        ; =>    This Inner Loop Header: Depth=3
	s_delay_alu instid0(VALU_DEP_2) | instskip(NEXT) | instid1(VALU_DEP_2)
	v_add_nc_u32_e32 v30, v14, v10
	v_add_nc_u32_e32 v21, 4, v21
	ds_load_b128 v[22:25], v14
	ds_load_b128 v[26:29], v30 offset:16
	v_add_nc_u32_e32 v14, 0x440, v14
	v_cmp_le_i32_e32 vcc_lo, s23, v21
	s_or_b32 s14, vcc_lo, s14
	s_waitcnt lgkmcnt(0)
	v_fma_f64 v[26:27], -v[1:2], v[22:23], v[26:27]
	v_fma_f64 v[28:29], -v[3:4], v[22:23], v[28:29]
	s_delay_alu instid0(VALU_DEP_2) | instskip(NEXT) | instid1(VALU_DEP_2)
	v_fma_f64 v[22:23], v[3:4], v[24:25], v[26:27]
	v_fma_f64 v[24:25], -v[1:2], v[24:25], v[28:29]
	ds_store_b128 v30, v[22:25] offset:16
	s_and_not1_b32 exec_lo, exec_lo, s14
	s_cbranch_execnz .LBB24_130
	s_branch .LBB24_125
.LBB24_131:                             ;   in Loop: Header=BB24_109 Depth=1
	s_or_b32 exec_lo, exec_lo, s9
	s_delay_alu instid0(SALU_CYCLE_1)
	s_and_b32 s7, s7, exec_lo
	s_and_not1_b32 s6, s6, exec_lo
	s_or_b32 exec_lo, exec_lo, s8
	s_and_saveexec_b32 s3, s6
	s_cbranch_execz .LBB24_108
.LBB24_132:                             ;   in Loop: Header=BB24_109 Depth=1
	v_add_nc_u32_e32 v11, 1, v19
	s_or_b32 s7, s7, exec_lo
	s_branch .LBB24_108
.LBB24_133:
	s_or_b32 exec_lo, exec_lo, s5
	s_waitcnt lgkmcnt(0)
	s_waitcnt_vscnt null, 0x0
	buffer_gl0_inv
	s_and_saveexec_b32 s2, s0
	s_cbranch_execnz .LBB24_135
	s_branch .LBB24_144
.LBB24_134:
	s_mov_b32 s4, s7
	buffer_gl0_inv
	s_and_saveexec_b32 s2, s0
	s_cbranch_execz .LBB24_144
.LBB24_135:
	s_mul_i32 s3, s28, s23
	v_bfe_u32 v3, v0, 10, 10
	v_add_nc_u32_e32 v1, s3, v5
	s_cmp_lg_u32 s30, 0
	s_mov_b32 s5, 0
	s_cselect_b32 s6, -1, 0
	v_cmp_gt_u32_e64 s0, s23, v3
	v_mul_lo_u32 v4, s23, v1
	v_mad_u32_u24 v6, 0x110, v3, v15
	s_lshl_b32 s7, s23, 4
	s_set_inst_prefetch_distance 0x1
	s_branch .LBB24_137
	.p2align	6
.LBB24_136:                             ;   in Loop: Header=BB24_137 Depth=1
	s_or_b32 exec_lo, exec_lo, s8
	v_add_nc_u32_e32 v5, 16, v5
	v_add_nc_u32_e32 v4, s7, v4
	;; [unrolled: 1-line block ×3, first 2 shown]
	s_delay_alu instid0(VALU_DEP_3) | instskip(SKIP_1) | instid1(SALU_CYCLE_1)
	v_cmp_le_i32_e32 vcc_lo, s23, v5
	s_or_b32 s5, vcc_lo, s5
	s_and_not1_b32 exec_lo, exec_lo, s5
	s_cbranch_execz .LBB24_144
.LBB24_137:                             ; =>This Loop Header: Depth=1
                                        ;     Child Loop BB24_140 Depth 2
	s_and_saveexec_b32 s8, s0
	s_cbranch_execz .LBB24_136
; %bb.138:                              ;   in Loop: Header=BB24_137 Depth=1
	v_dual_mov_b32 v7, v6 :: v_dual_mov_b32 v8, v3
	s_mov_b32 s9, 0
	s_branch .LBB24_140
	.p2align	6
.LBB24_139:                             ;   in Loop: Header=BB24_140 Depth=2
	ds_load_2addr_b64 v[9:12], v7 offset1:1
	v_ashrrev_i32_e32 v2, 31, v1
	v_add_nc_u32_e32 v8, 4, v8
	v_add_nc_u32_e32 v7, 0x440, v7
	s_delay_alu instid0(VALU_DEP_3) | instskip(NEXT) | instid1(VALU_DEP_3)
	v_lshlrev_b64 v[1:2], 4, v[1:2]
	v_cmp_le_i32_e32 vcc_lo, s23, v8
	s_or_b32 s9, vcc_lo, s9
	s_delay_alu instid0(VALU_DEP_2) | instskip(NEXT) | instid1(VALU_DEP_1)
	v_add_co_u32 v1, s1, s12, v1
	v_add_co_ci_u32_e64 v2, s1, s13, v2, s1
	s_waitcnt lgkmcnt(0)
	global_store_b128 v[1:2], v[9:12], off
	s_and_not1_b32 exec_lo, exec_lo, s9
	s_cbranch_execz .LBB24_136
.LBB24_140:                             ;   Parent Loop BB24_137 Depth=1
                                        ; =>  This Inner Loop Header: Depth=2
	s_and_b32 vcc_lo, exec_lo, s6
	s_cbranch_vccz .LBB24_142
; %bb.141:                              ;   in Loop: Header=BB24_140 Depth=2
	v_add_nc_u32_e32 v9, s3, v8
	s_delay_alu instid0(VALU_DEP_1)
	v_mad_u64_u32 v[1:2], null, v9, s23, v[5:6]
	s_cbranch_execnz .LBB24_139
	s_branch .LBB24_143
	.p2align	6
.LBB24_142:                             ;   in Loop: Header=BB24_140 Depth=2
                                        ; implicit-def: $vgpr1
.LBB24_143:                             ;   in Loop: Header=BB24_140 Depth=2
	v_add_nc_u32_e32 v1, v4, v8
	s_branch .LBB24_139
.LBB24_144:
	s_set_inst_prefetch_distance 0x2
	s_or_b32 exec_lo, exec_lo, s2
	s_add_i32 s3, s28, 1
	s_delay_alu instid0(SALU_CYCLE_1)
	s_cmp_ge_i32 s3, s25
	s_cbranch_scc1 .LBB24_177
.LBB24_145:
	v_and_b32_e32 v1, 0x3ff, v0
	v_bfe_u32 v5, v0, 10, 10
	s_cmp_lg_u32 s30, 0
	s_mul_i32 s7, s23, s23
	s_cselect_b32 s5, -1, 0
	v_mad_u64_u32 v[2:3], null, s23, s3, v[1:2]
	v_mul_u32_u24_e32 v3, 0x110, v5
	v_lshlrev_b32_e32 v4, 4, v1
	v_mul_u32_u24_e32 v9, 0x110, v1
	v_lshlrev_b32_e32 v10, 4, v5
	s_cmp_gt_i32 s23, 0
	v_cmp_gt_i32_e64 s0, s23, v1
	v_cmp_gt_i32_e64 s1, s23, v5
	v_add_nc_u32_e32 v6, 1, v5
	v_mul_lo_u32 v7, s23, v2
	v_add3_u32 v8, v3, v4, 0x1100
	v_add3_u32 v9, v10, v9, 0x1110
	v_add_nc_u32_e32 v10, 16, v10
	s_cselect_b32 s6, -1, 0
	s_lshl_b32 s8, s23, 4
.LBB24_146:                             ; =>This Loop Header: Depth=1
                                        ;     Child Loop BB24_149 Depth 2
                                        ;       Child Loop BB24_152 Depth 3
                                        ;     Child Loop BB24_159 Depth 2
                                        ;       Child Loop BB24_162 Depth 3
                                        ;         Child Loop BB24_164 Depth 4
                                        ;     Child Loop BB24_168 Depth 2
                                        ;       Child Loop BB24_171 Depth 3
	s_mul_i32 s9, s3, s23
	s_waitcnt lgkmcnt(0)
	s_waitcnt_vscnt null, 0x0
	buffer_gl0_inv
	s_and_saveexec_b32 s2, s0
	s_cbranch_execz .LBB24_156
; %bb.147:                              ;   in Loop: Header=BB24_146 Depth=1
	v_dual_mov_b32 v11, v8 :: v_dual_mov_b32 v12, v7
	v_mov_b32_e32 v2, v1
	s_mov_b32 s10, 0
	s_set_inst_prefetch_distance 0x1
	s_branch .LBB24_149
	.p2align	6
.LBB24_148:                             ;   in Loop: Header=BB24_149 Depth=2
	s_or_b32 exec_lo, exec_lo, s11
	v_add_nc_u32_e32 v2, 16, v2
	v_add_nc_u32_e32 v12, s8, v12
	;; [unrolled: 1-line block ×3, first 2 shown]
	s_delay_alu instid0(VALU_DEP_3) | instskip(SKIP_1) | instid1(SALU_CYCLE_1)
	v_cmp_le_i32_e32 vcc_lo, s23, v2
	s_or_b32 s10, vcc_lo, s10
	s_and_not1_b32 exec_lo, exec_lo, s10
	s_cbranch_execz .LBB24_156
.LBB24_149:                             ;   Parent Loop BB24_146 Depth=1
                                        ; =>  This Loop Header: Depth=2
                                        ;       Child Loop BB24_152 Depth 3
	s_and_saveexec_b32 s11, s1
	s_cbranch_execz .LBB24_148
; %bb.150:                              ;   in Loop: Header=BB24_149 Depth=2
	v_dual_mov_b32 v13, v11 :: v_dual_mov_b32 v14, v5
	s_mov_b32 s14, 0
	s_branch .LBB24_152
	.p2align	6
.LBB24_151:                             ;   in Loop: Header=BB24_152 Depth=3
	s_delay_alu instid0(VALU_DEP_1) | instskip(SKIP_1) | instid1(VALU_DEP_2)
	v_ashrrev_i32_e32 v4, 31, v3
	v_add_nc_u32_e32 v14, 4, v14
	v_lshlrev_b64 v[3:4], 4, v[3:4]
	s_delay_alu instid0(VALU_DEP_1) | instskip(NEXT) | instid1(VALU_DEP_2)
	v_add_co_u32 v3, vcc_lo, s12, v3
	v_add_co_ci_u32_e32 v4, vcc_lo, s13, v4, vcc_lo
	s_delay_alu instid0(VALU_DEP_4)
	v_cmp_le_i32_e32 vcc_lo, s23, v14
	global_load_b128 v[15:18], v[3:4], off
	s_or_b32 s14, vcc_lo, s14
	s_waitcnt vmcnt(0)
	ds_store_2addr_b64 v13, v[15:16], v[17:18] offset1:1
	v_add_nc_u32_e32 v13, 0x440, v13
	s_and_not1_b32 exec_lo, exec_lo, s14
	s_cbranch_execz .LBB24_148
.LBB24_152:                             ;   Parent Loop BB24_146 Depth=1
                                        ;     Parent Loop BB24_149 Depth=2
                                        ; =>    This Inner Loop Header: Depth=3
	s_and_b32 vcc_lo, exec_lo, s5
	s_cbranch_vccz .LBB24_154
; %bb.153:                              ;   in Loop: Header=BB24_152 Depth=3
	v_add_nc_u32_e32 v15, s9, v14
	s_delay_alu instid0(VALU_DEP_1)
	v_mad_u64_u32 v[3:4], null, v15, s23, v[2:3]
	s_cbranch_execnz .LBB24_151
	s_branch .LBB24_155
	.p2align	6
.LBB24_154:                             ;   in Loop: Header=BB24_152 Depth=3
                                        ; implicit-def: $vgpr3
.LBB24_155:                             ;   in Loop: Header=BB24_152 Depth=3
	v_add_nc_u32_e32 v3, v12, v14
	s_branch .LBB24_151
.LBB24_156:                             ;   in Loop: Header=BB24_146 Depth=1
	s_set_inst_prefetch_distance 0x2
	s_or_b32 exec_lo, exec_lo, s2
	s_delay_alu instid0(SALU_CYCLE_1)
	s_and_not1_b32 vcc_lo, exec_lo, s6
	s_waitcnt lgkmcnt(0)
	buffer_gl0_inv
	s_cbranch_vccnz .LBB24_165
; %bb.157:                              ;   in Loop: Header=BB24_146 Depth=1
	v_dual_mov_b32 v2, v10 :: v_dual_mov_b32 v3, v9
	s_mov_b32 s10, 0
	s_branch .LBB24_159
.LBB24_158:                             ;   in Loop: Header=BB24_159 Depth=2
	s_set_inst_prefetch_distance 0x2
	s_or_b32 exec_lo, exec_lo, s11
	v_add_nc_u32_e32 v3, 16, v3
	v_add_nc_u32_e32 v2, 0x120, v2
	s_add_i32 s10, s10, 1
	s_delay_alu instid0(SALU_CYCLE_1)
	s_cmp_eq_u32 s10, s23
	s_cbranch_scc1 .LBB24_165
.LBB24_159:                             ;   Parent Loop BB24_146 Depth=1
                                        ; =>  This Loop Header: Depth=2
                                        ;       Child Loop BB24_162 Depth 3
                                        ;         Child Loop BB24_164 Depth 4
	s_and_saveexec_b32 s11, s0
	s_cbranch_execz .LBB24_158
; %bb.160:                              ;   in Loop: Header=BB24_159 Depth=2
	v_dual_mov_b32 v11, v3 :: v_dual_add_nc_u32 v4, s10, v6
	v_mov_b32_e32 v12, v1
	s_mov_b32 s14, 0
	s_lshl_b32 s15, s10, 4
	s_delay_alu instid0(VALU_DEP_2)
	v_cmp_gt_i32_e32 vcc_lo, s23, v4
	s_set_inst_prefetch_distance 0x1
	s_branch .LBB24_162
	.p2align	6
.LBB24_161:                             ;   in Loop: Header=BB24_162 Depth=3
	s_or_b32 exec_lo, exec_lo, s16
	v_add_nc_u32_e32 v12, 16, v12
	v_add_nc_u32_e32 v11, 0x1100, v11
	s_delay_alu instid0(VALU_DEP_2) | instskip(NEXT) | instid1(VALU_DEP_1)
	v_cmp_le_i32_e64 s2, s23, v12
	s_or_b32 s14, s2, s14
	s_delay_alu instid0(SALU_CYCLE_1)
	s_and_not1_b32 exec_lo, exec_lo, s14
	s_cbranch_execz .LBB24_158
.LBB24_162:                             ;   Parent Loop BB24_146 Depth=1
                                        ;     Parent Loop BB24_159 Depth=2
                                        ; =>    This Loop Header: Depth=3
                                        ;         Child Loop BB24_164 Depth 4
	s_and_saveexec_b32 s16, vcc_lo
	s_cbranch_execz .LBB24_161
; %bb.163:                              ;   in Loop: Header=BB24_162 Depth=3
	v_mul_lo_u32 v15, 0x110, v12
	v_dual_mov_b32 v13, v2 :: v_dual_mov_b32 v14, v11
	v_mov_b32_e32 v16, v4
	s_mov_b32 s17, 0
	s_delay_alu instid0(VALU_DEP_3)
	v_add3_u32 v15, 0x1100, s15, v15
	.p2align	6
.LBB24_164:                             ;   Parent Loop BB24_146 Depth=1
                                        ;     Parent Loop BB24_159 Depth=2
                                        ;       Parent Loop BB24_162 Depth=3
                                        ; =>      This Inner Loop Header: Depth=4
	ds_load_b128 v[17:20], v13
	ds_load_b128 v[21:24], v15
	;; [unrolled: 1-line block ×3, first 2 shown]
	v_add_nc_u32_e32 v16, 4, v16
	v_add_nc_u32_e32 v13, 64, v13
	s_delay_alu instid0(VALU_DEP_2) | instskip(NEXT) | instid1(VALU_DEP_1)
	v_cmp_le_i32_e64 s2, s23, v16
	s_or_b32 s17, s2, s17
	s_waitcnt lgkmcnt(0)
	v_fma_f64 v[25:26], -v[17:18], v[21:22], v[25:26]
	v_fma_f64 v[21:22], -v[19:20], v[21:22], v[27:28]
	s_delay_alu instid0(VALU_DEP_2) | instskip(NEXT) | instid1(VALU_DEP_2)
	v_fma_f64 v[19:20], v[19:20], v[23:24], v[25:26]
	v_fma_f64 v[21:22], -v[17:18], v[23:24], v[21:22]
	ds_store_b128 v14, v[19:22]
	v_add_nc_u32_e32 v14, 64, v14
	s_and_not1_b32 exec_lo, exec_lo, s17
	s_cbranch_execnz .LBB24_164
	s_branch .LBB24_161
.LBB24_165:                             ;   in Loop: Header=BB24_146 Depth=1
	s_waitcnt lgkmcnt(0)
	buffer_gl0_inv
	s_and_saveexec_b32 s10, s0
	s_cbranch_execz .LBB24_175
; %bb.166:                              ;   in Loop: Header=BB24_146 Depth=1
	v_dual_mov_b32 v11, v8 :: v_dual_mov_b32 v12, v7
	v_mov_b32_e32 v2, v1
	s_mov_b32 s11, 0
	s_set_inst_prefetch_distance 0x1
	s_branch .LBB24_168
	.p2align	6
.LBB24_167:                             ;   in Loop: Header=BB24_168 Depth=2
	s_or_b32 exec_lo, exec_lo, s14
	v_add_nc_u32_e32 v2, 16, v2
	v_add_nc_u32_e32 v12, s8, v12
	;; [unrolled: 1-line block ×3, first 2 shown]
	s_delay_alu instid0(VALU_DEP_3) | instskip(SKIP_1) | instid1(SALU_CYCLE_1)
	v_cmp_le_i32_e32 vcc_lo, s23, v2
	s_or_b32 s11, vcc_lo, s11
	s_and_not1_b32 exec_lo, exec_lo, s11
	s_cbranch_execz .LBB24_175
.LBB24_168:                             ;   Parent Loop BB24_146 Depth=1
                                        ; =>  This Loop Header: Depth=2
                                        ;       Child Loop BB24_171 Depth 3
	s_and_saveexec_b32 s14, s1
	s_cbranch_execz .LBB24_167
; %bb.169:                              ;   in Loop: Header=BB24_168 Depth=2
	v_dual_mov_b32 v13, v11 :: v_dual_mov_b32 v14, v5
	s_mov_b32 s15, 0
	s_branch .LBB24_171
	.p2align	6
.LBB24_170:                             ;   in Loop: Header=BB24_171 Depth=3
	ds_load_2addr_b64 v[15:18], v13 offset1:1
	v_ashrrev_i32_e32 v4, 31, v3
	v_add_nc_u32_e32 v14, 4, v14
	v_add_nc_u32_e32 v13, 0x440, v13
	s_delay_alu instid0(VALU_DEP_3) | instskip(NEXT) | instid1(VALU_DEP_3)
	v_lshlrev_b64 v[3:4], 4, v[3:4]
	v_cmp_le_i32_e32 vcc_lo, s23, v14
	s_or_b32 s15, vcc_lo, s15
	s_delay_alu instid0(VALU_DEP_2) | instskip(NEXT) | instid1(VALU_DEP_1)
	v_add_co_u32 v3, s2, s12, v3
	v_add_co_ci_u32_e64 v4, s2, s13, v4, s2
	s_waitcnt lgkmcnt(0)
	global_store_b128 v[3:4], v[15:18], off
	s_and_not1_b32 exec_lo, exec_lo, s15
	s_cbranch_execz .LBB24_167
.LBB24_171:                             ;   Parent Loop BB24_146 Depth=1
                                        ;     Parent Loop BB24_168 Depth=2
                                        ; =>    This Inner Loop Header: Depth=3
	s_and_b32 vcc_lo, exec_lo, s5
	s_cbranch_vccz .LBB24_173
; %bb.172:                              ;   in Loop: Header=BB24_171 Depth=3
	v_add_nc_u32_e32 v15, s9, v14
	s_delay_alu instid0(VALU_DEP_1)
	v_mad_u64_u32 v[3:4], null, v15, s23, v[2:3]
	s_cbranch_execnz .LBB24_170
	s_branch .LBB24_174
	.p2align	6
.LBB24_173:                             ;   in Loop: Header=BB24_171 Depth=3
                                        ; implicit-def: $vgpr3
.LBB24_174:                             ;   in Loop: Header=BB24_171 Depth=3
	v_add_nc_u32_e32 v3, v12, v14
	s_branch .LBB24_170
.LBB24_175:                             ;   in Loop: Header=BB24_146 Depth=1
	s_set_inst_prefetch_distance 0x2
	s_or_b32 exec_lo, exec_lo, s10
; %bb.176:                              ;   in Loop: Header=BB24_146 Depth=1
	v_add_nc_u32_e32 v7, s7, v7
	s_add_i32 s3, s3, 1
	s_delay_alu instid0(SALU_CYCLE_1)
	s_cmp_ge_i32 s3, s25
	s_cbranch_scc0 .LBB24_146
.LBB24_177:
	v_and_b32_e32 v1, 0x3ff, v0
	v_bfe_u32 v0, v0, 10, 10
	s_mov_b32 s0, exec_lo
	s_delay_alu instid0(VALU_DEP_1) | instskip(NEXT) | instid1(VALU_DEP_1)
	v_or_b32_e32 v0, v1, v0
	v_cmpx_eq_u32_e32 0, v0
	s_cbranch_execz .LBB24_181
; %bb.178:
	v_dual_mov_b32 v0, 0 :: v_dual_mov_b32 v1, 1
	s_add_u32 s0, s20, s26
	s_addc_u32 s1, s21, s27
	s_waitcnt_vscnt null, 0x0
	global_store_b32 v0, v1, s[0:1]
	s_and_b32 exec_lo, exec_lo, s4
	s_cbranch_execz .LBB24_181
; %bb.179:
	v_mbcnt_lo_u32_b32 v0, exec_lo, 0
	s_delay_alu instid0(VALU_DEP_1)
	v_cmp_eq_u32_e32 vcc_lo, 0, v0
	s_and_b32 exec_lo, exec_lo, vcc_lo
	s_cbranch_execz .LBB24_181
; %bb.180:
	s_add_i32 s0, s22, s24
	s_delay_alu instid0(SALU_CYCLE_1)
	v_dual_mov_b32 v0, 0 :: v_dual_mov_b32 v1, s0
	global_atomic_min_i32 v0, v1, s[18:19]
.LBB24_181:
	s_endpgm
	.section	.rodata,"a",@progbits
	.p2align	6, 0x0
	.amdhsa_kernel _ZN9rocsparseL12bsrilu0_9_32ILj64ELj64ELj16E21rocsparse_complex_numIdEEEv20rocsparse_direction_iPKiS5_PT2_S5_iPiS5_S8_21rocsparse_index_base_imNS_24const_host_device_scalarIfEENSA_IdEENSA_IS6_EEb
		.amdhsa_group_segment_fixed_size 8704
		.amdhsa_private_segment_fixed_size 48
		.amdhsa_kernarg_size 124
		.amdhsa_user_sgpr_count 15
		.amdhsa_user_sgpr_dispatch_ptr 0
		.amdhsa_user_sgpr_queue_ptr 0
		.amdhsa_user_sgpr_kernarg_segment_ptr 1
		.amdhsa_user_sgpr_dispatch_id 0
		.amdhsa_user_sgpr_private_segment_size 0
		.amdhsa_wavefront_size32 1
		.amdhsa_uses_dynamic_stack 0
		.amdhsa_enable_private_segment 1
		.amdhsa_system_sgpr_workgroup_id_x 1
		.amdhsa_system_sgpr_workgroup_id_y 0
		.amdhsa_system_sgpr_workgroup_id_z 0
		.amdhsa_system_sgpr_workgroup_info 0
		.amdhsa_system_vgpr_workitem_id 1
		.amdhsa_next_free_vgpr 45
		.amdhsa_next_free_sgpr 47
		.amdhsa_reserve_vcc 1
		.amdhsa_float_round_mode_32 0
		.amdhsa_float_round_mode_16_64 0
		.amdhsa_float_denorm_mode_32 3
		.amdhsa_float_denorm_mode_16_64 3
		.amdhsa_dx10_clamp 1
		.amdhsa_ieee_mode 1
		.amdhsa_fp16_overflow 0
		.amdhsa_workgroup_processor_mode 1
		.amdhsa_memory_ordered 1
		.amdhsa_forward_progress 0
		.amdhsa_shared_vgpr_count 0
		.amdhsa_exception_fp_ieee_invalid_op 0
		.amdhsa_exception_fp_denorm_src 0
		.amdhsa_exception_fp_ieee_div_zero 0
		.amdhsa_exception_fp_ieee_overflow 0
		.amdhsa_exception_fp_ieee_underflow 0
		.amdhsa_exception_fp_ieee_inexact 0
		.amdhsa_exception_int_div_zero 0
	.end_amdhsa_kernel
	.section	.text._ZN9rocsparseL12bsrilu0_9_32ILj64ELj64ELj16E21rocsparse_complex_numIdEEEv20rocsparse_direction_iPKiS5_PT2_S5_iPiS5_S8_21rocsparse_index_base_imNS_24const_host_device_scalarIfEENSA_IdEENSA_IS6_EEb,"axG",@progbits,_ZN9rocsparseL12bsrilu0_9_32ILj64ELj64ELj16E21rocsparse_complex_numIdEEEv20rocsparse_direction_iPKiS5_PT2_S5_iPiS5_S8_21rocsparse_index_base_imNS_24const_host_device_scalarIfEENSA_IdEENSA_IS6_EEb,comdat
.Lfunc_end24:
	.size	_ZN9rocsparseL12bsrilu0_9_32ILj64ELj64ELj16E21rocsparse_complex_numIdEEEv20rocsparse_direction_iPKiS5_PT2_S5_iPiS5_S8_21rocsparse_index_base_imNS_24const_host_device_scalarIfEENSA_IdEENSA_IS6_EEb, .Lfunc_end24-_ZN9rocsparseL12bsrilu0_9_32ILj64ELj64ELj16E21rocsparse_complex_numIdEEEv20rocsparse_direction_iPKiS5_PT2_S5_iPiS5_S8_21rocsparse_index_base_imNS_24const_host_device_scalarIfEENSA_IdEENSA_IS6_EEb
                                        ; -- End function
	.section	.AMDGPU.csdata,"",@progbits
; Kernel info:
; codeLenInByte = 6604
; NumSgprs: 49
; NumVgprs: 45
; ScratchSize: 48
; MemoryBound: 0
; FloatMode: 240
; IeeeMode: 1
; LDSByteSize: 8704 bytes/workgroup (compile time only)
; SGPRBlocks: 6
; VGPRBlocks: 5
; NumSGPRsForWavesPerEU: 49
; NumVGPRsForWavesPerEU: 45
; Occupancy: 8
; WaveLimiterHint : 1
; COMPUTE_PGM_RSRC2:SCRATCH_EN: 1
; COMPUTE_PGM_RSRC2:USER_SGPR: 15
; COMPUTE_PGM_RSRC2:TRAP_HANDLER: 0
; COMPUTE_PGM_RSRC2:TGID_X_EN: 1
; COMPUTE_PGM_RSRC2:TGID_Y_EN: 0
; COMPUTE_PGM_RSRC2:TGID_Z_EN: 0
; COMPUTE_PGM_RSRC2:TIDIG_COMP_CNT: 1
	.section	.text._ZN9rocsparseL12bsrilu0_9_32ILj64ELj64ELj32E21rocsparse_complex_numIdEEEv20rocsparse_direction_iPKiS5_PT2_S5_iPiS5_S8_21rocsparse_index_base_imNS_24const_host_device_scalarIfEENSA_IdEENSA_IS6_EEb,"axG",@progbits,_ZN9rocsparseL12bsrilu0_9_32ILj64ELj64ELj32E21rocsparse_complex_numIdEEEv20rocsparse_direction_iPKiS5_PT2_S5_iPiS5_S8_21rocsparse_index_base_imNS_24const_host_device_scalarIfEENSA_IdEENSA_IS6_EEb,comdat
	.globl	_ZN9rocsparseL12bsrilu0_9_32ILj64ELj64ELj32E21rocsparse_complex_numIdEEEv20rocsparse_direction_iPKiS5_PT2_S5_iPiS5_S8_21rocsparse_index_base_imNS_24const_host_device_scalarIfEENSA_IdEENSA_IS6_EEb ; -- Begin function _ZN9rocsparseL12bsrilu0_9_32ILj64ELj64ELj32E21rocsparse_complex_numIdEEEv20rocsparse_direction_iPKiS5_PT2_S5_iPiS5_S8_21rocsparse_index_base_imNS_24const_host_device_scalarIfEENSA_IdEENSA_IS6_EEb
	.p2align	8
	.type	_ZN9rocsparseL12bsrilu0_9_32ILj64ELj64ELj32E21rocsparse_complex_numIdEEEv20rocsparse_direction_iPKiS5_PT2_S5_iPiS5_S8_21rocsparse_index_base_imNS_24const_host_device_scalarIfEENSA_IdEENSA_IS6_EEb,@function
_ZN9rocsparseL12bsrilu0_9_32ILj64ELj64ELj32E21rocsparse_complex_numIdEEEv20rocsparse_direction_iPKiS5_PT2_S5_iPiS5_S8_21rocsparse_index_base_imNS_24const_host_device_scalarIfEENSA_IdEENSA_IS6_EEb: ; @_ZN9rocsparseL12bsrilu0_9_32ILj64ELj64ELj32E21rocsparse_complex_numIdEEEv20rocsparse_direction_iPKiS5_PT2_S5_iPiS5_S8_21rocsparse_index_base_imNS_24const_host_device_scalarIfEENSA_IdEENSA_IS6_EEb
; %bb.0:
	s_clause 0x3
	s_load_b32 s2, s[0:1], 0x78
	s_load_b64 s[24:25], s[0:1], 0x48
	s_load_b256 s[16:23], s[0:1], 0x50
	s_load_b64 s[4:5], s[0:1], 0x70
	s_mov_b32 s6, s15
	s_waitcnt lgkmcnt(0)
	s_bitcmp1_b32 s2, 0
	s_cselect_b32 s2, -1, 0
	s_cmp_lg_u32 s25, 0
	v_dual_mov_b32 v1, s22 :: v_dual_mov_b32 v2, s23
	s_cselect_b32 s3, -1, 0
	s_cmp_eq_u32 s25, 0
	s_cselect_b32 s10, -1, 0
	scratch_store_b64 off, v[1:2], off offset:32
	s_and_b32 s7, s10, exec_lo
	s_cselect_b32 s8, 0, s20
	s_cselect_b32 s9, 0, s21
	s_or_b32 s7, s10, s2
	s_delay_alu instid0(SALU_CYCLE_1)
	s_and_b32 vcc_lo, exec_lo, s7
	s_xor_b32 s7, s7, -1
	s_cbranch_vccnz .LBB25_2
; %bb.1:
	s_load_b32 s8, s[18:19], 0x0
	s_waitcnt lgkmcnt(0)
	v_mov_b32_e32 v18, s8
	s_mov_b64 s[8:9], s[20:21]
	s_delay_alu instid0(SALU_CYCLE_1)
	v_dual_mov_b32 v10, s9 :: v_dual_mov_b32 v9, s8
	s_and_not1_b32 vcc_lo, exec_lo, s7
	s_cbranch_vccz .LBB25_3
	s_branch .LBB25_4
.LBB25_2:
	v_cndmask_b32_e64 v18, s18, 0, s10
	v_dual_mov_b32 v10, s9 :: v_dual_mov_b32 v9, s8
	s_and_not1_b32 vcc_lo, exec_lo, s7
	s_cbranch_vccnz .LBB25_4
.LBB25_3:
	v_dual_mov_b32 v1, s20 :: v_dual_mov_b32 v2, s21
	flat_load_b64 v[9:10], v[1:2]
.LBB25_4:
	v_mov_b32_e32 v1, 0
	v_mov_b32_e32 v2, 0
	v_cndmask_b32_e64 v17, 0, 1, s3
	s_and_not1_b32 vcc_lo, exec_lo, s3
	s_delay_alu instid0(VALU_DEP_2)
	v_dual_mov_b32 v4, v2 :: v_dual_mov_b32 v3, v1
	s_cbranch_vccnz .LBB25_7
; %bb.5:
	s_mov_b64 s[8:9], src_private_base
	s_xor_b32 s3, s2, -1
	s_and_b32 s7, s2, exec_lo
	s_cselect_b32 s7, s9, s23
	s_delay_alu instid0(SALU_CYCLE_1) | instskip(SKIP_2) | instid1(VALU_DEP_2)
	v_dual_mov_b32 v1, 32 :: v_dual_mov_b32 v2, s7
	v_dual_mov_b32 v3, s4 :: v_dual_mov_b32 v4, s5
	s_and_not1_b32 vcc_lo, exec_lo, s3
	v_cndmask_b32_e64 v1, s22, v1, s2
	flat_load_b64 v[1:2], v[1:2]
	s_cbranch_vccnz .LBB25_7
; %bb.6:
	v_dual_mov_b32 v3, s22 :: v_dual_mov_b32 v4, s23
	flat_load_b64 v[3:4], v[3:4] offset:8
.LBB25_7:
	s_clause 0x1
	s_load_b128 s[20:23], s[0:1], 0x30
	s_load_b64 s[18:19], s[0:1], 0x40
	s_mov_b32 s7, 0
	s_delay_alu instid0(SALU_CYCLE_1)
	s_lshl_b64 s[2:3], s[6:7], 2
	s_waitcnt lgkmcnt(0)
	s_add_u32 s2, s22, s2
	s_addc_u32 s3, s23, s3
	s_load_b32 s22, s[2:3], 0x0
	s_load_b256 s[8:15], s[0:1], 0x8
	s_waitcnt vmcnt(0)
	scratch_store_b128 off, v[1:4], off
	s_waitcnt lgkmcnt(0)
	s_ashr_i32 s23, s22, 31
	s_delay_alu instid0(SALU_CYCLE_1) | instskip(NEXT) | instid1(SALU_CYCLE_1)
	s_lshl_b64 s[26:27], s[22:23], 2
	s_add_u32 s2, s14, s26
	s_addc_u32 s3, s15, s27
	s_load_b32 s28, s[2:3], 0x0
	s_waitcnt lgkmcnt(0)
	s_cmp_eq_u32 s28, -1
	s_cbranch_scc1 .LBB25_104
; %bb.8:
	s_add_u32 s2, s8, s26
	s_addc_u32 s3, s9, s27
	s_load_b64 s[2:3], s[2:3], 0x0
	s_clause 0x1
	s_load_b64 s[30:31], s[0:1], 0x0
	s_load_b32 s23, s[0:1], 0x28
	s_waitcnt lgkmcnt(0)
	s_sub_i32 s34, s2, s24
	s_sub_i32 s25, s3, s24
	s_cmp_ge_i32 s34, s28
	s_cbranch_scc1 .LBB25_93
; %bb.9:
	v_bfe_u32 v19, v0, 10, 10
	v_dual_mov_b32 v28, 0 :: v_dual_and_b32 v11, 0x3ff, v0
	s_cmp_lg_u32 s30, 0
	s_mul_i32 s40, s23, s23
	s_delay_alu instid0(VALU_DEP_2) | instskip(NEXT) | instid1(VALU_DEP_2)
	v_lshlrev_b32_e32 v1, 5, v19
	v_lshlrev_b32_e32 v5, 4, v11
	s_cselect_b32 s29, -1, 0
	s_cmp_gt_i32 s23, 0
	v_cmp_gt_i32_e64 s0, s23, v11
	v_add3_u32 v12, v1, v11, s34
	v_mad_u32_u24 v21, 0x210, v19, v5
	s_cselect_b32 s33, -1, 0
	s_add_i32 s31, s31, 1
	v_cmp_le_i32_e64 s1, s23, v11
	v_ashrrev_i32_e32 v13, 31, v12
	v_mad_u64_u32 v[3:4], null, s23, s34, v[11:12]
	v_cmp_gt_i32_e64 s2, s23, v19
	v_cmp_eq_u32_e64 s3, 0, v19
	s_delay_alu instid0(VALU_DEP_4)
	v_lshlrev_b64 v[1:2], 2, v[12:13]
	v_add_nc_u32_e32 v20, 1, v19
	s_add_u32 s36, s8, 4
	v_cmp_gt_i32_e64 s4, s25, v12
	v_mul_lo_u32 v22, s23, v3
	v_mul_u32_u24_e32 v23, 0x210, v19
	v_add_co_u32 v13, vcc_lo, s10, v1
	v_add_co_ci_u32_e32 v14, vcc_lo, s11, v2, vcc_lo
	v_add_nc_u32_e32 v24, 0x4200, v21
	v_add_nc_u32_e32 v25, 0x4410, v21
	v_mad_u32_u24 v26, 0x210, v19, 0x210
	v_add_nc_u32_e32 v27, 0x4200, v5
	s_addc_u32 s37, s9, 0
	s_add_u32 s38, s10, 0x100
	s_addc_u32 s39, s11, 0
	s_lshl_b32 s41, s23, 5
	s_branch .LBB25_12
.LBB25_10:                              ;   in Loop: Header=BB25_12 Depth=1
	s_mov_b32 s7, -1
.LBB25_11:                              ;   in Loop: Header=BB25_12 Depth=1
	s_add_i32 s34, s34, 1
	v_add_nc_u32_e32 v22, s40, v22
	s_cmp_lt_i32 s34, s28
	s_cselect_b32 s6, -1, 0
	s_delay_alu instid0(SALU_CYCLE_1) | instskip(NEXT) | instid1(SALU_CYCLE_1)
	s_and_b32 s5, s5, s6
	s_and_b32 vcc_lo, exec_lo, s5
	s_cbranch_vccz .LBB25_93
.LBB25_12:                              ; =>This Loop Header: Depth=1
                                        ;     Child Loop BB25_15 Depth 2
                                        ;       Child Loop BB25_18 Depth 3
                                        ;     Child Loop BB25_24 Depth 2
                                        ;     Child Loop BB25_28 Depth 2
                                        ;       Child Loop BB25_31 Depth 3
                                        ;     Child Loop BB25_38 Depth 2
                                        ;       Child Loop BB25_41 Depth 3
                                        ;         Child Loop BB25_45 Depth 4
                                        ;     Child Loop BB25_49 Depth 2
                                        ;       Child Loop BB25_52 Depth 3
                                        ;     Child Loop BB25_61 Depth 2
                                        ;       Child Loop BB25_66 Depth 3
                                        ;       Child Loop BB25_75 Depth 3
                                        ;         Child Loop BB25_78 Depth 4
                                        ;       Child Loop BB25_84 Depth 3
                                        ;         Child Loop BB25_87 Depth 4
                                        ;           Child Loop BB25_88 Depth 5
	s_ashr_i32 s35, s34, 31
	s_delay_alu instid0(SALU_CYCLE_1) | instskip(NEXT) | instid1(SALU_CYCLE_1)
	s_lshl_b64 s[8:9], s[34:35], 2
	s_add_u32 s8, s10, s8
	s_addc_u32 s9, s11, s9
	global_load_b32 v1, v28, s[8:9]
	s_waitcnt vmcnt(0)
	v_readfirstlane_b32 s5, v1
	s_and_saveexec_b32 s6, s0
	s_cbranch_execz .LBB25_22
; %bb.13:                               ;   in Loop: Header=BB25_12 Depth=1
	v_dual_mov_b32 v4, v24 :: v_dual_mov_b32 v5, v22
	v_mov_b32_e32 v1, v11
	s_mul_i32 s8, s34, s23
	s_mov_b32 s9, 0
	s_set_inst_prefetch_distance 0x1
	s_branch .LBB25_15
	.p2align	6
.LBB25_14:                              ;   in Loop: Header=BB25_15 Depth=2
	s_or_b32 exec_lo, exec_lo, s35
	v_add_nc_u32_e32 v1, 32, v1
	v_add_nc_u32_e32 v5, s41, v5
	;; [unrolled: 1-line block ×3, first 2 shown]
	s_delay_alu instid0(VALU_DEP_3) | instskip(SKIP_1) | instid1(SALU_CYCLE_1)
	v_cmp_le_i32_e32 vcc_lo, s23, v1
	s_or_b32 s9, vcc_lo, s9
	s_and_not1_b32 exec_lo, exec_lo, s9
	s_cbranch_execz .LBB25_22
.LBB25_15:                              ;   Parent Loop BB25_12 Depth=1
                                        ; =>  This Loop Header: Depth=2
                                        ;       Child Loop BB25_18 Depth 3
	s_and_saveexec_b32 s35, s2
	s_cbranch_execz .LBB25_14
; %bb.16:                               ;   in Loop: Header=BB25_15 Depth=2
	v_dual_mov_b32 v6, v4 :: v_dual_mov_b32 v7, v19
	s_mov_b32 s42, 0
	s_branch .LBB25_18
	.p2align	6
.LBB25_17:                              ;   in Loop: Header=BB25_18 Depth=3
	s_delay_alu instid0(VALU_DEP_1) | instskip(SKIP_1) | instid1(VALU_DEP_2)
	v_ashrrev_i32_e32 v3, 31, v2
	v_add_nc_u32_e32 v7, 2, v7
	v_lshlrev_b64 v[2:3], 4, v[2:3]
	s_delay_alu instid0(VALU_DEP_1) | instskip(NEXT) | instid1(VALU_DEP_2)
	v_add_co_u32 v2, vcc_lo, s12, v2
	v_add_co_ci_u32_e32 v3, vcc_lo, s13, v3, vcc_lo
	s_delay_alu instid0(VALU_DEP_4)
	v_cmp_le_i32_e32 vcc_lo, s23, v7
	global_load_b128 v[29:32], v[2:3], off
	s_or_b32 s42, vcc_lo, s42
	s_waitcnt vmcnt(0)
	ds_store_2addr_b64 v6, v[29:30], v[31:32] offset1:1
	v_add_nc_u32_e32 v6, 0x420, v6
	s_and_not1_b32 exec_lo, exec_lo, s42
	s_cbranch_execz .LBB25_14
.LBB25_18:                              ;   Parent Loop BB25_12 Depth=1
                                        ;     Parent Loop BB25_15 Depth=2
                                        ; =>    This Inner Loop Header: Depth=3
	s_and_b32 vcc_lo, exec_lo, s29
	s_cbranch_vccz .LBB25_20
; %bb.19:                               ;   in Loop: Header=BB25_18 Depth=3
	v_add_nc_u32_e32 v8, s8, v7
	s_delay_alu instid0(VALU_DEP_1)
	v_mad_u64_u32 v[2:3], null, v8, s23, v[1:2]
	s_cbranch_execnz .LBB25_17
	s_branch .LBB25_21
	.p2align	6
.LBB25_20:                              ;   in Loop: Header=BB25_18 Depth=3
                                        ; implicit-def: $vgpr2
.LBB25_21:                              ;   in Loop: Header=BB25_18 Depth=3
	v_add_nc_u32_e32 v2, v5, v7
	s_branch .LBB25_17
.LBB25_22:                              ;   in Loop: Header=BB25_12 Depth=1
	s_set_inst_prefetch_distance 0x2
	s_or_b32 exec_lo, exec_lo, s6
	s_sub_i32 s8, s5, s24
	s_delay_alu instid0(SALU_CYCLE_1) | instskip(NEXT) | instid1(SALU_CYCLE_1)
	s_ashr_i32 s9, s8, 31
	s_lshl_b64 s[8:9], s[8:9], 2
	s_delay_alu instid0(SALU_CYCLE_1)
	s_add_u32 s42, s14, s8
	s_addc_u32 s43, s15, s9
	global_load_b32 v1, v28, s[42:43]
	s_waitcnt vmcnt(0)
	v_cmp_eq_u32_e32 vcc_lo, -1, v1
	v_readfirstlane_b32 s35, v1
	v_cmp_ne_u32_e64 s5, -1, v1
	s_cbranch_vccnz .LBB25_10
; %bb.23:                               ;   in Loop: Header=BB25_12 Depth=1
	s_add_u32 s42, s36, s8
	s_addc_u32 s43, s37, s9
	s_add_u32 s8, s20, s8
	global_load_b32 v1, v28, s[42:43]
	s_addc_u32 s9, s21, s9
	s_waitcnt vmcnt(0)
	v_readfirstlane_b32 s42, v1
.LBB25_24:                              ;   Parent Loop BB25_12 Depth=1
                                        ; =>  This Inner Loop Header: Depth=2
	global_load_b32 v1, v28, s[8:9] glc
	s_waitcnt vmcnt(0)
	v_cmp_eq_u32_e32 vcc_lo, 0, v1
	s_cbranch_vccnz .LBB25_24
; %bb.25:                               ;   in Loop: Header=BB25_12 Depth=1
	s_waitcnt lgkmcnt(0)
	s_waitcnt_vscnt null, 0x0
	buffer_gl1_inv
	buffer_gl0_inv
	s_and_saveexec_b32 s6, s0
	s_cbranch_execz .LBB25_35
; %bb.26:                               ;   in Loop: Header=BB25_12 Depth=1
	s_mul_i32 s8, s35, s23
	v_mov_b32_e32 v5, v21
	v_add_nc_u32_e32 v1, s8, v11
	s_mov_b32 s9, 0
	s_delay_alu instid0(VALU_DEP_1)
	v_mul_lo_u32 v4, s23, v1
	v_mov_b32_e32 v1, v11
	s_set_inst_prefetch_distance 0x1
	s_branch .LBB25_28
	.p2align	6
.LBB25_27:                              ;   in Loop: Header=BB25_28 Depth=2
	s_or_b32 exec_lo, exec_lo, s43
	v_add_nc_u32_e32 v1, 32, v1
	v_add_nc_u32_e32 v4, s41, v4
	v_add_nc_u32_e32 v5, 0x200, v5
	s_delay_alu instid0(VALU_DEP_3) | instskip(SKIP_1) | instid1(SALU_CYCLE_1)
	v_cmp_le_i32_e32 vcc_lo, s23, v1
	s_or_b32 s9, vcc_lo, s9
	s_and_not1_b32 exec_lo, exec_lo, s9
	s_cbranch_execz .LBB25_35
.LBB25_28:                              ;   Parent Loop BB25_12 Depth=1
                                        ; =>  This Loop Header: Depth=2
                                        ;       Child Loop BB25_31 Depth 3
	s_and_saveexec_b32 s43, s2
	s_cbranch_execz .LBB25_27
; %bb.29:                               ;   in Loop: Header=BB25_28 Depth=2
	v_dual_mov_b32 v6, v5 :: v_dual_mov_b32 v7, v19
	s_mov_b32 s44, 0
	s_branch .LBB25_31
	.p2align	6
.LBB25_30:                              ;   in Loop: Header=BB25_31 Depth=3
	s_delay_alu instid0(VALU_DEP_1) | instskip(SKIP_1) | instid1(VALU_DEP_2)
	v_ashrrev_i32_e32 v3, 31, v2
	v_add_nc_u32_e32 v7, 2, v7
	v_lshlrev_b64 v[2:3], 4, v[2:3]
	s_delay_alu instid0(VALU_DEP_1) | instskip(NEXT) | instid1(VALU_DEP_2)
	v_add_co_u32 v2, vcc_lo, s12, v2
	v_add_co_ci_u32_e32 v3, vcc_lo, s13, v3, vcc_lo
	s_delay_alu instid0(VALU_DEP_4)
	v_cmp_le_i32_e32 vcc_lo, s23, v7
	global_load_b128 v[29:32], v[2:3], off
	s_or_b32 s44, vcc_lo, s44
	s_waitcnt vmcnt(0)
	ds_store_2addr_b64 v6, v[29:30], v[31:32] offset1:1
	v_add_nc_u32_e32 v6, 0x420, v6
	s_and_not1_b32 exec_lo, exec_lo, s44
	s_cbranch_execz .LBB25_27
.LBB25_31:                              ;   Parent Loop BB25_12 Depth=1
                                        ;     Parent Loop BB25_28 Depth=2
                                        ; =>    This Inner Loop Header: Depth=3
	s_and_b32 vcc_lo, exec_lo, s29
	s_cbranch_vccz .LBB25_33
; %bb.32:                               ;   in Loop: Header=BB25_31 Depth=3
	v_add_nc_u32_e32 v8, s8, v7
	s_delay_alu instid0(VALU_DEP_1)
	v_mad_u64_u32 v[2:3], null, v8, s23, v[1:2]
	s_cbranch_execnz .LBB25_30
	s_branch .LBB25_34
	.p2align	6
.LBB25_33:                              ;   in Loop: Header=BB25_31 Depth=3
                                        ; implicit-def: $vgpr2
.LBB25_34:                              ;   in Loop: Header=BB25_31 Depth=3
	v_add_nc_u32_e32 v2, v4, v7
	s_branch .LBB25_30
.LBB25_35:                              ;   in Loop: Header=BB25_12 Depth=1
	s_set_inst_prefetch_distance 0x2
	s_or_b32 exec_lo, exec_lo, s6
	s_delay_alu instid0(SALU_CYCLE_1)
	s_and_not1_b32 vcc_lo, exec_lo, s33
	s_waitcnt lgkmcnt(0)
	buffer_gl0_inv
	s_cbranch_vccnz .LBB25_46
; %bb.36:                               ;   in Loop: Header=BB25_12 Depth=1
	v_dual_mov_b32 v29, v26 :: v_dual_mov_b32 v30, v25
	s_mov_b32 s8, 0
	s_branch .LBB25_38
.LBB25_37:                              ;   in Loop: Header=BB25_38 Depth=2
	s_or_b32 exec_lo, exec_lo, s9
	v_add_nc_u32_e32 v30, 0x210, v30
	v_add_nc_u32_e32 v29, 0x220, v29
	s_add_i32 s8, s8, 1
	s_waitcnt lgkmcnt(0)
	buffer_gl0_inv
	s_cmp_eq_u32 s8, s23
	s_cbranch_scc1 .LBB25_46
.LBB25_38:                              ;   Parent Loop BB25_12 Depth=1
                                        ; =>  This Loop Header: Depth=2
                                        ;       Child Loop BB25_41 Depth 3
                                        ;         Child Loop BB25_45 Depth 4
	s_and_saveexec_b32 s9, s0
	s_cbranch_execz .LBB25_37
; %bb.39:                               ;   in Loop: Header=BB25_38 Depth=2
	s_lshl_b32 s6, s8, 4
	s_mul_i32 s43, s8, 0x210
	s_mov_b32 s44, 0
	s_add_i32 s6, s43, s6
	s_delay_alu instid0(SALU_CYCLE_1) | instskip(SKIP_3) | instid1(VALU_DEP_1)
	v_mov_b32_e32 v1, s6
	ds_load_b128 v[1:4], v1
	s_waitcnt lgkmcnt(0)
	v_mul_f64 v[5:6], v[3:4], v[3:4]
	v_fma_f64 v[5:6], v[1:2], v[1:2], v[5:6]
	s_delay_alu instid0(VALU_DEP_1) | instskip(NEXT) | instid1(VALU_DEP_1)
	v_div_scale_f64 v[7:8], null, v[5:6], v[5:6], 1.0
	v_rcp_f64_e32 v[15:16], v[7:8]
	s_waitcnt_depctr 0xfff
	v_fma_f64 v[31:32], -v[7:8], v[15:16], 1.0
	s_delay_alu instid0(VALU_DEP_1) | instskip(NEXT) | instid1(VALU_DEP_1)
	v_fma_f64 v[15:16], v[15:16], v[31:32], v[15:16]
	v_fma_f64 v[31:32], -v[7:8], v[15:16], 1.0
	s_delay_alu instid0(VALU_DEP_1) | instskip(SKIP_1) | instid1(VALU_DEP_1)
	v_fma_f64 v[15:16], v[15:16], v[31:32], v[15:16]
	v_div_scale_f64 v[31:32], vcc_lo, 1.0, v[5:6], 1.0
	v_mul_f64 v[33:34], v[31:32], v[15:16]
	s_delay_alu instid0(VALU_DEP_1) | instskip(SKIP_1) | instid1(VALU_DEP_2)
	v_fma_f64 v[7:8], -v[7:8], v[33:34], v[31:32]
	v_dual_mov_b32 v32, v30 :: v_dual_add_nc_u32 v31, s8, v20
	v_div_fmas_f64 v[7:8], v[7:8], v[15:16], v[33:34]
	s_delay_alu instid0(VALU_DEP_2) | instskip(SKIP_1) | instid1(VALU_DEP_3)
	v_cmp_gt_i32_e32 vcc_lo, s23, v31
	v_mov_b32_e32 v33, v11
	v_div_fixup_f64 v[15:16], v[7:8], v[5:6], 1.0
	s_branch .LBB25_41
.LBB25_40:                              ;   in Loop: Header=BB25_41 Depth=3
	s_or_b32 exec_lo, exec_lo, s45
	v_add_nc_u32_e32 v33, 32, v33
	v_add_nc_u32_e32 v32, 0x200, v32
	s_delay_alu instid0(VALU_DEP_2) | instskip(NEXT) | instid1(VALU_DEP_1)
	v_cmp_le_i32_e64 s6, s23, v33
	s_or_b32 s44, s6, s44
	s_delay_alu instid0(SALU_CYCLE_1)
	s_and_not1_b32 exec_lo, exec_lo, s44
	s_cbranch_execz .LBB25_37
.LBB25_41:                              ;   Parent Loop BB25_12 Depth=1
                                        ;     Parent Loop BB25_38 Depth=2
                                        ; =>    This Loop Header: Depth=3
                                        ;         Child Loop BB25_45 Depth 4
	s_delay_alu instid0(VALU_DEP_2)
	v_lshl_add_u32 v34, v33, 4, s43
	ds_load_b128 v[5:8], v34 offset:16896
	s_waitcnt lgkmcnt(0)
	buffer_gl0_inv
	v_mul_f64 v[35:36], v[3:4], v[7:8]
	v_mul_f64 v[37:38], v[3:4], -v[5:6]
	s_delay_alu instid0(VALU_DEP_2) | instskip(NEXT) | instid1(VALU_DEP_2)
	v_fma_f64 v[5:6], v[5:6], v[1:2], v[35:36]
	v_fma_f64 v[7:8], v[7:8], v[1:2], v[37:38]
	s_delay_alu instid0(VALU_DEP_2) | instskip(NEXT) | instid1(VALU_DEP_2)
	v_mul_f64 v[5:6], v[15:16], v[5:6]
	v_mul_f64 v[7:8], v[15:16], v[7:8]
	s_and_saveexec_b32 s6, s3
	s_cbranch_execz .LBB25_43
; %bb.42:                               ;   in Loop: Header=BB25_41 Depth=3
	v_add_nc_u32_e32 v34, 0x4200, v34
	ds_store_b128 v34, v[5:8]
.LBB25_43:                              ;   in Loop: Header=BB25_41 Depth=3
	s_or_b32 exec_lo, exec_lo, s6
	s_and_saveexec_b32 s45, vcc_lo
	s_cbranch_execz .LBB25_40
; %bb.44:                               ;   in Loop: Header=BB25_41 Depth=3
	v_dual_mov_b32 v34, v29 :: v_dual_mov_b32 v35, v32
	v_mov_b32_e32 v36, v31
	s_mov_b32 s46, 0
	.p2align	6
.LBB25_45:                              ;   Parent Loop BB25_12 Depth=1
                                        ;     Parent Loop BB25_38 Depth=2
                                        ;       Parent Loop BB25_41 Depth=3
                                        ; =>      This Inner Loop Header: Depth=4
	ds_load_b128 v[37:40], v34
	ds_load_b128 v[41:44], v35
	v_add_nc_u32_e32 v36, 2, v36
	v_add_nc_u32_e32 v34, 0x420, v34
	s_delay_alu instid0(VALU_DEP_2) | instskip(NEXT) | instid1(VALU_DEP_1)
	v_cmp_le_i32_e64 s6, s23, v36
	s_or_b32 s46, s6, s46
	s_waitcnt lgkmcnt(0)
	v_fma_f64 v[41:42], -v[5:6], v[37:38], v[41:42]
	v_fma_f64 v[43:44], -v[7:8], v[37:38], v[43:44]
	s_delay_alu instid0(VALU_DEP_2) | instskip(NEXT) | instid1(VALU_DEP_2)
	v_fma_f64 v[37:38], v[7:8], v[39:40], v[41:42]
	v_fma_f64 v[39:40], -v[5:6], v[39:40], v[43:44]
	ds_store_b128 v35, v[37:40]
	v_add_nc_u32_e32 v35, 0x420, v35
	s_and_not1_b32 exec_lo, exec_lo, s46
	s_cbranch_execnz .LBB25_45
	s_branch .LBB25_40
.LBB25_46:                              ;   in Loop: Header=BB25_12 Depth=1
	s_and_saveexec_b32 s8, s0
	s_cbranch_execz .LBB25_56
; %bb.47:                               ;   in Loop: Header=BB25_12 Depth=1
	v_dual_mov_b32 v4, v24 :: v_dual_mov_b32 v5, v22
	v_mov_b32_e32 v1, v11
	s_mul_i32 s9, s34, s23
	s_mov_b32 s43, 0
	s_set_inst_prefetch_distance 0x1
	s_branch .LBB25_49
	.p2align	6
.LBB25_48:                              ;   in Loop: Header=BB25_49 Depth=2
	s_or_b32 exec_lo, exec_lo, s44
	v_add_nc_u32_e32 v1, 32, v1
	v_add_nc_u32_e32 v5, s41, v5
	;; [unrolled: 1-line block ×3, first 2 shown]
	s_delay_alu instid0(VALU_DEP_3) | instskip(SKIP_1) | instid1(SALU_CYCLE_1)
	v_cmp_le_i32_e32 vcc_lo, s23, v1
	s_or_b32 s43, vcc_lo, s43
	s_and_not1_b32 exec_lo, exec_lo, s43
	s_cbranch_execz .LBB25_56
.LBB25_49:                              ;   Parent Loop BB25_12 Depth=1
                                        ; =>  This Loop Header: Depth=2
                                        ;       Child Loop BB25_52 Depth 3
	s_and_saveexec_b32 s44, s2
	s_cbranch_execz .LBB25_48
; %bb.50:                               ;   in Loop: Header=BB25_49 Depth=2
	v_dual_mov_b32 v6, v4 :: v_dual_mov_b32 v7, v19
	s_mov_b32 s45, 0
	s_branch .LBB25_52
	.p2align	6
.LBB25_51:                              ;   in Loop: Header=BB25_52 Depth=3
	ds_load_2addr_b64 v[29:32], v6 offset1:1
	v_ashrrev_i32_e32 v3, 31, v2
	v_add_nc_u32_e32 v7, 2, v7
	v_add_nc_u32_e32 v6, 0x420, v6
	s_delay_alu instid0(VALU_DEP_3) | instskip(NEXT) | instid1(VALU_DEP_3)
	v_lshlrev_b64 v[2:3], 4, v[2:3]
	v_cmp_le_i32_e32 vcc_lo, s23, v7
	s_or_b32 s45, vcc_lo, s45
	s_delay_alu instid0(VALU_DEP_2) | instskip(NEXT) | instid1(VALU_DEP_1)
	v_add_co_u32 v2, s6, s12, v2
	v_add_co_ci_u32_e64 v3, s6, s13, v3, s6
	s_waitcnt lgkmcnt(0)
	global_store_b128 v[2:3], v[29:32], off
	s_and_not1_b32 exec_lo, exec_lo, s45
	s_cbranch_execz .LBB25_48
.LBB25_52:                              ;   Parent Loop BB25_12 Depth=1
                                        ;     Parent Loop BB25_49 Depth=2
                                        ; =>    This Inner Loop Header: Depth=3
	s_and_b32 vcc_lo, exec_lo, s29
	s_cbranch_vccz .LBB25_54
; %bb.53:                               ;   in Loop: Header=BB25_52 Depth=3
	v_add_nc_u32_e32 v8, s9, v7
	s_delay_alu instid0(VALU_DEP_1)
	v_mad_u64_u32 v[2:3], null, v8, s23, v[1:2]
	s_cbranch_execnz .LBB25_51
	s_branch .LBB25_55
	.p2align	6
.LBB25_54:                              ;   in Loop: Header=BB25_52 Depth=3
                                        ; implicit-def: $vgpr2
.LBB25_55:                              ;   in Loop: Header=BB25_52 Depth=3
	v_add_nc_u32_e32 v2, v5, v7
	s_branch .LBB25_51
.LBB25_56:                              ;   in Loop: Header=BB25_12 Depth=1
	s_set_inst_prefetch_distance 0x2
	s_or_b32 exec_lo, exec_lo, s8
	s_sub_i32 s6, s42, s24
	s_add_i32 s8, s35, 1
	s_delay_alu instid0(SALU_CYCLE_1)
	s_cmp_ge_i32 s8, s6
	s_cbranch_scc1 .LBB25_11
; %bb.57:                               ;   in Loop: Header=BB25_12 Depth=1
	v_mad_u64_u32 v[1:2], null, s23, s8, v[11:12]
	s_delay_alu instid0(VALU_DEP_1)
	v_mul_lo_u32 v8, s23, v1
	s_branch .LBB25_61
.LBB25_58:                              ;   in Loop: Header=BB25_61 Depth=2
	s_or_b32 exec_lo, exec_lo, s35
.LBB25_59:                              ;   in Loop: Header=BB25_61 Depth=2
	s_delay_alu instid0(SALU_CYCLE_1)
	s_or_b32 exec_lo, exec_lo, s9
.LBB25_60:                              ;   in Loop: Header=BB25_61 Depth=2
	v_add_nc_u32_e32 v8, s40, v8
	s_add_i32 s8, s8, 1
	s_waitcnt lgkmcnt(0)
	s_waitcnt_vscnt null, 0x0
	buffer_gl0_inv
	s_cmp_lt_i32 s8, s6
	s_cbranch_scc0 .LBB25_11
.LBB25_61:                              ;   Parent Loop BB25_12 Depth=1
                                        ; =>  This Loop Header: Depth=2
                                        ;       Child Loop BB25_66 Depth 3
                                        ;       Child Loop BB25_75 Depth 3
                                        ;         Child Loop BB25_78 Depth 4
                                        ;       Child Loop BB25_84 Depth 3
                                        ;         Child Loop BB25_87 Depth 4
                                        ;           Child Loop BB25_88 Depth 5
	s_ashr_i32 s9, s8, 31
	v_mov_b32_e32 v2, s31
	s_lshl_b64 s[42:43], s[8:9], 2
	s_delay_alu instid0(SALU_CYCLE_1)
	s_add_u32 s42, s10, s42
	s_addc_u32 s43, s11, s43
	global_load_b32 v1, v28, s[42:43]
	s_and_saveexec_b32 s9, s4
	s_cbranch_execz .LBB25_63
; %bb.62:                               ;   in Loop: Header=BB25_61 Depth=2
	global_load_b32 v2, v[13:14], off
	s_waitcnt vmcnt(0)
	v_subrev_nc_u32_e32 v2, s24, v2
.LBB25_63:                              ;   in Loop: Header=BB25_61 Depth=2
	s_or_b32 exec_lo, exec_lo, s9
	s_waitcnt vmcnt(0)
	v_subrev_nc_u32_e32 v3, s24, v1
	v_mov_b32_e32 v4, v12
	s_mov_b32 s9, exec_lo
	s_delay_alu instid0(VALU_DEP_2)
	v_cmpx_lt_i32_e64 v2, v3
	s_cbranch_execz .LBB25_69
; %bb.64:                               ;   in Loop: Header=BB25_61 Depth=2
	v_mov_b32_e32 v1, v12
	s_mov_b32 s35, 0
	s_branch .LBB25_66
	.p2align	6
.LBB25_65:                              ;   in Loop: Header=BB25_66 Depth=3
	s_or_b32 exec_lo, exec_lo, s42
	s_delay_alu instid0(VALU_DEP_1) | instskip(SKIP_2) | instid1(SALU_CYCLE_1)
	v_cmp_ge_i32_e32 vcc_lo, v2, v3
	v_mov_b32_e32 v1, v4
	s_or_b32 s35, vcc_lo, s35
	s_and_not1_b32 exec_lo, exec_lo, s35
	s_cbranch_execz .LBB25_68
.LBB25_66:                              ;   Parent Loop BB25_12 Depth=1
                                        ;     Parent Loop BB25_61 Depth=2
                                        ; =>    This Inner Loop Header: Depth=3
	s_delay_alu instid0(VALU_DEP_1) | instskip(SKIP_2) | instid1(VALU_DEP_2)
	v_add_nc_u32_e32 v4, 64, v1
	v_mov_b32_e32 v2, s31
	s_mov_b32 s42, exec_lo
	v_cmpx_gt_i32_e64 s25, v4
	s_cbranch_execz .LBB25_65
; %bb.67:                               ;   in Loop: Header=BB25_66 Depth=3
	v_ashrrev_i32_e32 v2, 31, v1
	s_delay_alu instid0(VALU_DEP_1) | instskip(NEXT) | instid1(VALU_DEP_1)
	v_lshlrev_b64 v[1:2], 2, v[1:2]
	v_add_co_u32 v1, vcc_lo, s38, v1
	s_delay_alu instid0(VALU_DEP_2)
	v_add_co_ci_u32_e32 v2, vcc_lo, s39, v2, vcc_lo
	global_load_b32 v1, v[1:2], off
	s_waitcnt vmcnt(0)
	v_subrev_nc_u32_e32 v2, s24, v1
	s_branch .LBB25_65
.LBB25_68:                              ;   in Loop: Header=BB25_61 Depth=2
	s_or_b32 exec_lo, exec_lo, s35
.LBB25_69:                              ;   in Loop: Header=BB25_61 Depth=2
	s_delay_alu instid0(SALU_CYCLE_1)
	s_or_b32 exec_lo, exec_lo, s9
	v_cmp_eq_u32_e32 vcc_lo, v2, v3
	s_cbranch_vccz .LBB25_60
; %bb.70:                               ;   in Loop: Header=BB25_61 Depth=2
	s_ctz_i32_b32 s9, vcc_lo
	s_delay_alu instid0(SALU_CYCLE_1) | instskip(NEXT) | instid1(SALU_CYCLE_1)
	s_lshl_b32 s9, s9, 2
	v_mov_b32_e32 v1, s9
	ds_bpermute_b32 v4, v1, v4
	s_and_saveexec_b32 s9, s1
	s_delay_alu instid0(SALU_CYCLE_1)
	s_xor_b32 s9, exec_lo, s9
	s_cbranch_execz .LBB25_72
; %bb.71:                               ;   in Loop: Header=BB25_61 Depth=2
	s_waitcnt lgkmcnt(0)
	s_waitcnt_vscnt null, 0x0
	buffer_gl0_inv
                                        ; implicit-def: $vgpr4
.LBB25_72:                              ;   in Loop: Header=BB25_61 Depth=2
	s_and_not1_saveexec_b32 s9, s9
	s_cbranch_execz .LBB25_59
; %bb.73:                               ;   in Loop: Header=BB25_61 Depth=2
	v_dual_mov_b32 v5, v21 :: v_dual_mov_b32 v6, v8
	v_mov_b32_e32 v1, v11
	s_mul_i32 s42, s8, s23
	s_mov_b32 s35, 0
	s_set_inst_prefetch_distance 0x1
	s_branch .LBB25_75
	.p2align	6
.LBB25_74:                              ;   in Loop: Header=BB25_75 Depth=3
	s_or_b32 exec_lo, exec_lo, s43
	v_add_nc_u32_e32 v1, 32, v1
	v_add_nc_u32_e32 v6, s41, v6
	;; [unrolled: 1-line block ×3, first 2 shown]
	s_delay_alu instid0(VALU_DEP_3) | instskip(SKIP_1) | instid1(SALU_CYCLE_1)
	v_cmp_le_i32_e32 vcc_lo, s23, v1
	s_or_b32 s35, vcc_lo, s35
	s_and_not1_b32 exec_lo, exec_lo, s35
	s_cbranch_execz .LBB25_82
.LBB25_75:                              ;   Parent Loop BB25_12 Depth=1
                                        ;     Parent Loop BB25_61 Depth=2
                                        ; =>    This Loop Header: Depth=3
                                        ;         Child Loop BB25_78 Depth 4
	s_and_saveexec_b32 s43, s2
	s_cbranch_execz .LBB25_74
; %bb.76:                               ;   in Loop: Header=BB25_75 Depth=3
	v_mov_b32_e32 v7, v5
	v_mov_b32_e32 v15, v19
	s_mov_b32 s44, 0
	s_branch .LBB25_78
	.p2align	6
.LBB25_77:                              ;   in Loop: Header=BB25_78 Depth=4
	s_delay_alu instid0(VALU_DEP_1) | instskip(SKIP_1) | instid1(VALU_DEP_2)
	v_ashrrev_i32_e32 v3, 31, v2
	v_add_nc_u32_e32 v15, 2, v15
	v_lshlrev_b64 v[2:3], 4, v[2:3]
	s_delay_alu instid0(VALU_DEP_1) | instskip(NEXT) | instid1(VALU_DEP_2)
	v_add_co_u32 v2, vcc_lo, s12, v2
	v_add_co_ci_u32_e32 v3, vcc_lo, s13, v3, vcc_lo
	s_delay_alu instid0(VALU_DEP_4)
	v_cmp_le_i32_e32 vcc_lo, s23, v15
	global_load_b128 v[29:32], v[2:3], off
	s_or_b32 s44, vcc_lo, s44
	s_waitcnt vmcnt(0)
	ds_store_2addr_b64 v7, v[29:30], v[31:32] offset1:1
	v_add_nc_u32_e32 v7, 0x420, v7
	s_and_not1_b32 exec_lo, exec_lo, s44
	s_cbranch_execz .LBB25_74
.LBB25_78:                              ;   Parent Loop BB25_12 Depth=1
                                        ;     Parent Loop BB25_61 Depth=2
                                        ;       Parent Loop BB25_75 Depth=3
                                        ; =>      This Inner Loop Header: Depth=4
	s_and_b32 vcc_lo, exec_lo, s29
	s_cbranch_vccz .LBB25_80
; %bb.79:                               ;   in Loop: Header=BB25_78 Depth=4
	v_add_nc_u32_e32 v16, s42, v15
	s_delay_alu instid0(VALU_DEP_1)
	v_mad_u64_u32 v[2:3], null, v16, s23, v[1:2]
	s_cbranch_execnz .LBB25_77
	s_branch .LBB25_81
	.p2align	6
.LBB25_80:                              ;   in Loop: Header=BB25_78 Depth=4
                                        ; implicit-def: $vgpr2
.LBB25_81:                              ;   in Loop: Header=BB25_78 Depth=4
	v_add_nc_u32_e32 v2, v6, v15
	s_branch .LBB25_77
.LBB25_82:                              ;   in Loop: Header=BB25_61 Depth=2
	s_set_inst_prefetch_distance 0x2
	s_or_b32 exec_lo, exec_lo, s35
	s_waitcnt lgkmcnt(0)
	v_mul_lo_u32 v15, v4, s23
	v_mov_b32_e32 v16, v27
	v_mov_b32_e32 v1, v11
	s_mov_b32 s35, 0
	s_waitcnt_vscnt null, 0x0
	buffer_gl0_inv
	s_branch .LBB25_84
.LBB25_83:                              ;   in Loop: Header=BB25_84 Depth=3
	s_or_b32 exec_lo, exec_lo, s42
	v_add_nc_u32_e32 v1, 32, v1
	v_add_nc_u32_e32 v16, 0x200, v16
	s_delay_alu instid0(VALU_DEP_2) | instskip(SKIP_1) | instid1(SALU_CYCLE_1)
	v_cmp_le_i32_e32 vcc_lo, s23, v1
	s_or_b32 s35, vcc_lo, s35
	s_and_not1_b32 exec_lo, exec_lo, s35
	s_cbranch_execz .LBB25_58
.LBB25_84:                              ;   Parent Loop BB25_12 Depth=1
                                        ;     Parent Loop BB25_61 Depth=2
                                        ; =>    This Loop Header: Depth=3
                                        ;         Child Loop BB25_87 Depth 4
                                        ;           Child Loop BB25_88 Depth 5
	s_and_saveexec_b32 s42, s2
	s_cbranch_execz .LBB25_83
; %bb.85:                               ;   in Loop: Header=BB25_84 Depth=3
	v_dual_mov_b32 v31, v19 :: v_dual_add_nc_u32 v2, v1, v15
	v_mov_b32_e32 v30, v23
	s_mov_b32 s43, 0
	s_delay_alu instid0(VALU_DEP_2)
	v_mul_lo_u32 v29, v2, s23
	s_branch .LBB25_87
.LBB25_86:                              ;   in Loop: Header=BB25_87 Depth=4
	s_delay_alu instid0(VALU_DEP_1) | instskip(SKIP_2) | instid1(VALU_DEP_3)
	v_ashrrev_i32_e32 v7, 31, v6
	v_add_nc_u32_e32 v31, 2, v31
	v_add_nc_u32_e32 v30, 0x420, v30
	v_lshlrev_b64 v[6:7], 4, v[6:7]
	s_delay_alu instid0(VALU_DEP_1) | instskip(NEXT) | instid1(VALU_DEP_2)
	v_add_co_u32 v6, vcc_lo, s12, v6
	v_add_co_ci_u32_e32 v7, vcc_lo, s13, v7, vcc_lo
	v_cmp_le_i32_e32 vcc_lo, s23, v31
	global_load_b128 v[32:35], v[6:7], off
	s_or_b32 s43, vcc_lo, s43
	s_waitcnt vmcnt(0)
	v_add_f64 v[2:3], v[32:33], -v[2:3]
	v_add_f64 v[4:5], v[34:35], -v[4:5]
	global_store_b128 v[6:7], v[2:5], off
	s_and_not1_b32 exec_lo, exec_lo, s43
	s_cbranch_execz .LBB25_83
.LBB25_87:                              ;   Parent Loop BB25_12 Depth=1
                                        ;     Parent Loop BB25_61 Depth=2
                                        ;       Parent Loop BB25_84 Depth=3
                                        ; =>      This Loop Header: Depth=4
                                        ;           Child Loop BB25_88 Depth 5
	s_delay_alu instid0(VALU_DEP_2) | instskip(SKIP_2) | instid1(VALU_DEP_1)
	v_dual_mov_b32 v2, 0 :: v_dual_mov_b32 v7, v30
	v_dual_mov_b32 v3, 0 :: v_dual_mov_b32 v6, v16
	s_mov_b32 s44, s23
	v_dual_mov_b32 v5, v3 :: v_dual_mov_b32 v4, v2
	.p2align	6
.LBB25_88:                              ;   Parent Loop BB25_12 Depth=1
                                        ;     Parent Loop BB25_61 Depth=2
                                        ;       Parent Loop BB25_84 Depth=3
                                        ;         Parent Loop BB25_87 Depth=4
                                        ; =>        This Inner Loop Header: Depth=5
	ds_load_b128 v[32:35], v6
	ds_load_b128 v[36:39], v7
	v_add_nc_u32_e32 v7, 16, v7
	v_add_nc_u32_e32 v6, 0x210, v6
	s_add_i32 s44, s44, -1
	s_delay_alu instid0(SALU_CYCLE_1) | instskip(SKIP_3) | instid1(VALU_DEP_2)
	s_cmp_eq_u32 s44, 0
	s_waitcnt lgkmcnt(0)
	v_fma_f64 v[2:3], v[32:33], v[36:37], v[2:3]
	v_fma_f64 v[4:5], v[34:35], v[36:37], v[4:5]
	v_fma_f64 v[2:3], -v[34:35], v[38:39], v[2:3]
	s_delay_alu instid0(VALU_DEP_2)
	v_fma_f64 v[4:5], v[32:33], v[38:39], v[4:5]
	s_cbranch_scc0 .LBB25_88
; %bb.89:                               ;   in Loop: Header=BB25_87 Depth=4
	s_and_b32 vcc_lo, exec_lo, s29
	s_cbranch_vccz .LBB25_91
; %bb.90:                               ;   in Loop: Header=BB25_87 Depth=4
	v_add_nc_u32_e32 v32, v31, v15
	s_delay_alu instid0(VALU_DEP_1)
	v_mad_u64_u32 v[6:7], null, v32, s23, v[1:2]
	s_cbranch_execnz .LBB25_86
	s_branch .LBB25_92
.LBB25_91:                              ;   in Loop: Header=BB25_87 Depth=4
                                        ; implicit-def: $vgpr6
.LBB25_92:                              ;   in Loop: Header=BB25_87 Depth=4
	v_add_nc_u32_e32 v6, v31, v29
	s_branch .LBB25_86
.LBB25_93:
	s_ashr_i32 s29, s28, 31
	v_mov_b32_e32 v1, 0
	s_lshl_b64 s[0:1], s[28:29], 2
	s_delay_alu instid0(SALU_CYCLE_1) | instskip(SKIP_4) | instid1(VALU_DEP_1)
	s_add_u32 s0, s10, s0
	s_addc_u32 s1, s11, s1
	global_load_b32 v1, v1, s[0:1]
	s_waitcnt vmcnt(0)
	v_subrev_nc_u32_e32 v1, s24, v1
	v_cmp_ne_u32_e32 vcc_lo, s22, v1
	s_cbranch_vccnz .LBB25_105
; %bb.94:
	v_and_b32_e32 v5, 0x3ff, v0
	s_delay_alu instid0(VALU_DEP_1) | instskip(SKIP_1) | instid1(VALU_DEP_2)
	v_cmp_gt_i32_e64 s0, s23, v5
	v_lshlrev_b32_e32 v15, 4, v5
	s_and_saveexec_b32 s2, s0
	s_cbranch_execz .LBB25_106
; %bb.95:
	s_mul_i32 s3, s28, s23
	v_bfe_u32 v4, v0, 10, 10
	v_add_nc_u32_e32 v1, s3, v5
	v_lshlrev_b32_e32 v2, 4, v5
	s_cmp_lg_u32 s30, 0
	s_mov_b32 s4, 0
	v_cmp_gt_u32_e64 s1, s23, v4
	v_mul_lo_u32 v6, s23, v1
	v_mov_b32_e32 v1, v5
	v_mad_u32_u24 v7, 0x210, v4, v2
	s_cselect_b32 s5, -1, 0
	s_lshl_b32 s6, s23, 5
	s_set_inst_prefetch_distance 0x1
	s_branch .LBB25_97
	.p2align	6
.LBB25_96:                              ;   in Loop: Header=BB25_97 Depth=1
	s_or_b32 exec_lo, exec_lo, s8
	v_add_nc_u32_e32 v1, 32, v1
	v_add_nc_u32_e32 v6, s6, v6
	;; [unrolled: 1-line block ×3, first 2 shown]
	s_delay_alu instid0(VALU_DEP_3) | instskip(SKIP_1) | instid1(SALU_CYCLE_1)
	v_cmp_le_i32_e32 vcc_lo, s23, v1
	s_or_b32 s4, vcc_lo, s4
	s_and_not1_b32 exec_lo, exec_lo, s4
	s_cbranch_execz .LBB25_106
.LBB25_97:                              ; =>This Loop Header: Depth=1
                                        ;     Child Loop BB25_100 Depth 2
	s_and_saveexec_b32 s8, s1
	s_cbranch_execz .LBB25_96
; %bb.98:                               ;   in Loop: Header=BB25_97 Depth=1
	v_dual_mov_b32 v8, v7 :: v_dual_mov_b32 v11, v4
	s_mov_b32 s9, 0
	s_branch .LBB25_100
	.p2align	6
.LBB25_99:                              ;   in Loop: Header=BB25_100 Depth=2
	s_delay_alu instid0(VALU_DEP_1) | instskip(SKIP_1) | instid1(VALU_DEP_2)
	v_ashrrev_i32_e32 v3, 31, v2
	v_add_nc_u32_e32 v11, 2, v11
	v_lshlrev_b64 v[2:3], 4, v[2:3]
	s_delay_alu instid0(VALU_DEP_1) | instskip(NEXT) | instid1(VALU_DEP_2)
	v_add_co_u32 v2, vcc_lo, s12, v2
	v_add_co_ci_u32_e32 v3, vcc_lo, s13, v3, vcc_lo
	s_delay_alu instid0(VALU_DEP_4)
	v_cmp_le_i32_e32 vcc_lo, s23, v11
	global_load_b128 v[19:22], v[2:3], off
	s_or_b32 s9, vcc_lo, s9
	s_waitcnt vmcnt(0)
	ds_store_2addr_b64 v8, v[19:20], v[21:22] offset1:1
	v_add_nc_u32_e32 v8, 0x420, v8
	s_and_not1_b32 exec_lo, exec_lo, s9
	s_cbranch_execz .LBB25_96
.LBB25_100:                             ;   Parent Loop BB25_97 Depth=1
                                        ; =>  This Inner Loop Header: Depth=2
	s_and_b32 vcc_lo, exec_lo, s5
	s_cbranch_vccz .LBB25_102
; %bb.101:                              ;   in Loop: Header=BB25_100 Depth=2
	v_add_nc_u32_e32 v12, s3, v11
	s_delay_alu instid0(VALU_DEP_1)
	v_mad_u64_u32 v[2:3], null, v12, s23, v[1:2]
	s_cbranch_execnz .LBB25_99
	s_branch .LBB25_103
	.p2align	6
.LBB25_102:                             ;   in Loop: Header=BB25_100 Depth=2
                                        ; implicit-def: $vgpr2
.LBB25_103:                             ;   in Loop: Header=BB25_100 Depth=2
	v_add_nc_u32_e32 v2, v6, v11
	s_branch .LBB25_99
.LBB25_104:
	s_mov_b32 s4, -1
	s_branch .LBB25_177
.LBB25_105:
	s_mov_b32 s4, s7
	s_add_i32 s3, s28, 1
	s_delay_alu instid0(SALU_CYCLE_1)
	s_cmp_ge_i32 s3, s25
	s_cbranch_scc0 .LBB25_145
	s_branch .LBB25_177
.LBB25_106:
	s_set_inst_prefetch_distance 0x2
	s_or_b32 exec_lo, exec_lo, s2
	s_cmp_lt_i32 s23, 1
	s_waitcnt lgkmcnt(0)
	s_waitcnt_vscnt null, 0x0
	buffer_gl0_inv
	s_cbranch_scc1 .LBB25_134
; %bb.107:
	v_cvt_f64_f32_e32 v[1:2], v18
	v_bfe_u32 v16, v0, 10, 10
	s_cmp_eq_u64 s[16:17], 8
	s_mov_b32 s5, 0
	s_cselect_b32 vcc_lo, -1, 0
	v_mov_b32_e32 v19, 0
	v_or_b32_e32 v3, v5, v16
	v_cmp_eq_u32_e64 s1, 0, v16
	v_mad_u32_u24 v6, 0x210, v16, 0x210
                                        ; implicit-def: $sgpr4
	v_mov_b32_e32 v18, 16
	s_delay_alu instid0(VALU_DEP_4)
	v_cmp_eq_u32_e64 s2, 0, v3
	v_dual_cndmask_b32 v8, v2, v10 :: v_dual_cndmask_b32 v7, v1, v9
	s_branch .LBB25_109
.LBB25_108:                             ;   in Loop: Header=BB25_109 Depth=1
	s_or_b32 exec_lo, exec_lo, s3
	s_delay_alu instid0(VALU_DEP_1) | instskip(SKIP_4) | instid1(SALU_CYCLE_1)
	v_cmp_eq_u32_e32 vcc_lo, s23, v11
	v_mov_b32_e32 v19, v11
	s_or_b32 s5, vcc_lo, s5
	s_and_not1_b32 s3, s4, exec_lo
	s_and_b32 s4, s7, exec_lo
	s_or_b32 s4, s3, s4
	s_and_not1_b32 exec_lo, exec_lo, s5
	s_cbranch_execz .LBB25_133
.LBB25_109:                             ; =>This Loop Header: Depth=1
                                        ;     Child Loop BB25_126 Depth 2
                                        ;       Child Loop BB25_130 Depth 3
	v_mul_lo_u32 v20, 0x210, v19
	v_cmp_ne_u32_e32 vcc_lo, 1, v17
	s_mov_b32 s3, -1
	s_mov_b32 s8, 0
	s_and_b32 vcc_lo, exec_lo, vcc_lo
	s_delay_alu instid0(VALU_DEP_2)
	v_lshl_add_u32 v21, v19, 4, v20
	ds_load_2addr_b64 v[1:4], v21 offset1:1
	s_waitcnt lgkmcnt(0)
	scratch_store_b128 off, v[1:4], off offset:16
	s_cbranch_vccz .LBB25_113
; %bb.110:                              ;   in Loop: Header=BB25_109 Depth=1
	s_and_b32 vcc_lo, exec_lo, s3
	s_mov_b32 s6, 0
	s_cbranch_vccnz .LBB25_122
.LBB25_111:                             ;   in Loop: Header=BB25_109 Depth=1
                                        ; implicit-def: $vgpr11
	s_and_saveexec_b32 s3, s8
	s_delay_alu instid0(SALU_CYCLE_1)
	s_xor_b32 s8, exec_lo, s3
	s_cbranch_execnz .LBB25_123
.LBB25_112:                             ;   in Loop: Header=BB25_109 Depth=1
	s_or_b32 exec_lo, exec_lo, s8
	s_and_saveexec_b32 s3, s6
	s_cbranch_execz .LBB25_108
	s_branch .LBB25_132
.LBB25_113:                             ;   in Loop: Header=BB25_109 Depth=1
	v_cmp_gt_f64_e32 vcc_lo, 0, v[1:2]
	v_cmp_gt_f64_e64 s3, 0, v[3:4]
	v_xor_b32_e32 v9, 0x80000000, v2
	v_xor_b32_e32 v11, 0x80000000, v4
                                        ; implicit-def: $vgpr13_vgpr14
	s_delay_alu instid0(VALU_DEP_2) | instskip(NEXT) | instid1(VALU_DEP_2)
	v_cndmask_b32_e32 v10, v2, v9, vcc_lo
	v_cndmask_b32_e64 v12, v4, v11, s3
	v_cndmask_b32_e32 v9, v1, v1, vcc_lo
	v_cndmask_b32_e64 v11, v3, v3, s3
	s_mov_b32 s3, exec_lo
	s_delay_alu instid0(VALU_DEP_1)
	v_cmpx_ngt_f64_e32 v[9:10], v[11:12]
	s_xor_b32 s3, exec_lo, s3
	s_cbranch_execz .LBB25_117
; %bb.114:                              ;   in Loop: Header=BB25_109 Depth=1
	v_mov_b32_e32 v13, 0
	v_mov_b32_e32 v14, 0
	s_mov_b32 s6, exec_lo
	v_cmpx_neq_f64_e32 0, v[3:4]
	s_cbranch_execz .LBB25_116
; %bb.115:                              ;   in Loop: Header=BB25_109 Depth=1
	v_div_scale_f64 v[13:14], null, v[11:12], v[11:12], v[9:10]
	v_div_scale_f64 v[26:27], vcc_lo, v[9:10], v[11:12], v[9:10]
	s_delay_alu instid0(VALU_DEP_2) | instskip(SKIP_2) | instid1(VALU_DEP_1)
	v_rcp_f64_e32 v[22:23], v[13:14]
	s_waitcnt_depctr 0xfff
	v_fma_f64 v[24:25], -v[13:14], v[22:23], 1.0
	v_fma_f64 v[22:23], v[22:23], v[24:25], v[22:23]
	s_delay_alu instid0(VALU_DEP_1) | instskip(NEXT) | instid1(VALU_DEP_1)
	v_fma_f64 v[24:25], -v[13:14], v[22:23], 1.0
	v_fma_f64 v[22:23], v[22:23], v[24:25], v[22:23]
	s_delay_alu instid0(VALU_DEP_1) | instskip(NEXT) | instid1(VALU_DEP_1)
	v_mul_f64 v[24:25], v[26:27], v[22:23]
	v_fma_f64 v[13:14], -v[13:14], v[24:25], v[26:27]
	s_delay_alu instid0(VALU_DEP_1) | instskip(NEXT) | instid1(VALU_DEP_1)
	v_div_fmas_f64 v[13:14], v[13:14], v[22:23], v[24:25]
	v_div_fixup_f64 v[9:10], v[13:14], v[11:12], v[9:10]
	s_delay_alu instid0(VALU_DEP_1) | instskip(NEXT) | instid1(VALU_DEP_1)
	v_fma_f64 v[9:10], v[9:10], v[9:10], 1.0
	v_cmp_gt_f64_e32 vcc_lo, 0x10000000, v[9:10]
	v_cndmask_b32_e64 v13, 0, 1, vcc_lo
	s_delay_alu instid0(VALU_DEP_1) | instskip(NEXT) | instid1(VALU_DEP_1)
	v_lshlrev_b32_e32 v13, 8, v13
	v_ldexp_f64 v[9:10], v[9:10], v13
	s_delay_alu instid0(VALU_DEP_1) | instskip(SKIP_3) | instid1(VALU_DEP_1)
	v_rsq_f64_e32 v[13:14], v[9:10]
	s_waitcnt_depctr 0xfff
	v_mul_f64 v[22:23], v[9:10], v[13:14]
	v_mul_f64 v[13:14], v[13:14], 0.5
	v_fma_f64 v[24:25], -v[13:14], v[22:23], 0.5
	s_delay_alu instid0(VALU_DEP_1) | instskip(SKIP_1) | instid1(VALU_DEP_2)
	v_fma_f64 v[22:23], v[22:23], v[24:25], v[22:23]
	v_fma_f64 v[13:14], v[13:14], v[24:25], v[13:14]
	v_fma_f64 v[24:25], -v[22:23], v[22:23], v[9:10]
	s_delay_alu instid0(VALU_DEP_1) | instskip(NEXT) | instid1(VALU_DEP_1)
	v_fma_f64 v[22:23], v[24:25], v[13:14], v[22:23]
	v_fma_f64 v[24:25], -v[22:23], v[22:23], v[9:10]
	s_delay_alu instid0(VALU_DEP_1) | instskip(SKIP_2) | instid1(VALU_DEP_2)
	v_fma_f64 v[13:14], v[24:25], v[13:14], v[22:23]
	v_cndmask_b32_e64 v22, 0, 0xffffff80, vcc_lo
	v_cmp_class_f64_e64 vcc_lo, v[9:10], 0x260
	v_ldexp_f64 v[13:14], v[13:14], v22
	s_delay_alu instid0(VALU_DEP_1) | instskip(NEXT) | instid1(VALU_DEP_1)
	v_dual_cndmask_b32 v10, v14, v10 :: v_dual_cndmask_b32 v9, v13, v9
	v_mul_f64 v[13:14], v[11:12], v[9:10]
.LBB25_116:                             ;   in Loop: Header=BB25_109 Depth=1
	s_or_b32 exec_lo, exec_lo, s6
                                        ; implicit-def: $vgpr9_vgpr10
                                        ; implicit-def: $vgpr11_vgpr12
.LBB25_117:                             ;   in Loop: Header=BB25_109 Depth=1
	s_and_not1_saveexec_b32 s3, s3
	s_cbranch_execz .LBB25_119
; %bb.118:                              ;   in Loop: Header=BB25_109 Depth=1
	v_div_scale_f64 v[13:14], null, v[9:10], v[9:10], v[11:12]
	v_div_scale_f64 v[26:27], vcc_lo, v[11:12], v[9:10], v[11:12]
	s_delay_alu instid0(VALU_DEP_2) | instskip(SKIP_2) | instid1(VALU_DEP_1)
	v_rcp_f64_e32 v[22:23], v[13:14]
	s_waitcnt_depctr 0xfff
	v_fma_f64 v[24:25], -v[13:14], v[22:23], 1.0
	v_fma_f64 v[22:23], v[22:23], v[24:25], v[22:23]
	s_delay_alu instid0(VALU_DEP_1) | instskip(NEXT) | instid1(VALU_DEP_1)
	v_fma_f64 v[24:25], -v[13:14], v[22:23], 1.0
	v_fma_f64 v[22:23], v[22:23], v[24:25], v[22:23]
	s_delay_alu instid0(VALU_DEP_1) | instskip(NEXT) | instid1(VALU_DEP_1)
	v_mul_f64 v[24:25], v[26:27], v[22:23]
	v_fma_f64 v[13:14], -v[13:14], v[24:25], v[26:27]
	s_delay_alu instid0(VALU_DEP_1) | instskip(NEXT) | instid1(VALU_DEP_1)
	v_div_fmas_f64 v[13:14], v[13:14], v[22:23], v[24:25]
	v_div_fixup_f64 v[11:12], v[13:14], v[9:10], v[11:12]
	s_delay_alu instid0(VALU_DEP_1) | instskip(NEXT) | instid1(VALU_DEP_1)
	v_fma_f64 v[11:12], v[11:12], v[11:12], 1.0
	v_cmp_gt_f64_e32 vcc_lo, 0x10000000, v[11:12]
	v_cndmask_b32_e64 v13, 0, 1, vcc_lo
	s_delay_alu instid0(VALU_DEP_1) | instskip(NEXT) | instid1(VALU_DEP_1)
	v_lshlrev_b32_e32 v13, 8, v13
	v_ldexp_f64 v[11:12], v[11:12], v13
	s_delay_alu instid0(VALU_DEP_1) | instskip(SKIP_3) | instid1(VALU_DEP_1)
	v_rsq_f64_e32 v[13:14], v[11:12]
	s_waitcnt_depctr 0xfff
	v_mul_f64 v[22:23], v[11:12], v[13:14]
	v_mul_f64 v[13:14], v[13:14], 0.5
	v_fma_f64 v[24:25], -v[13:14], v[22:23], 0.5
	s_delay_alu instid0(VALU_DEP_1) | instskip(SKIP_1) | instid1(VALU_DEP_2)
	v_fma_f64 v[22:23], v[22:23], v[24:25], v[22:23]
	v_fma_f64 v[13:14], v[13:14], v[24:25], v[13:14]
	v_fma_f64 v[24:25], -v[22:23], v[22:23], v[11:12]
	s_delay_alu instid0(VALU_DEP_1) | instskip(NEXT) | instid1(VALU_DEP_1)
	v_fma_f64 v[22:23], v[24:25], v[13:14], v[22:23]
	v_fma_f64 v[24:25], -v[22:23], v[22:23], v[11:12]
	s_delay_alu instid0(VALU_DEP_1) | instskip(SKIP_2) | instid1(VALU_DEP_2)
	v_fma_f64 v[13:14], v[24:25], v[13:14], v[22:23]
	v_cndmask_b32_e64 v22, 0, 0xffffff80, vcc_lo
	v_cmp_class_f64_e64 vcc_lo, v[11:12], 0x260
	v_ldexp_f64 v[13:14], v[13:14], v22
	s_delay_alu instid0(VALU_DEP_1) | instskip(NEXT) | instid1(VALU_DEP_1)
	v_dual_cndmask_b32 v12, v14, v12 :: v_dual_cndmask_b32 v11, v13, v11
	v_mul_f64 v[13:14], v[9:10], v[11:12]
.LBB25_119:                             ;   in Loop: Header=BB25_109 Depth=1
	s_or_b32 exec_lo, exec_lo, s3
	s_delay_alu instid0(VALU_DEP_1)
	v_cmp_le_f64_e32 vcc_lo, v[13:14], v[7:8]
	v_cndmask_b32_e64 v9, v18, 0, vcc_lo
	scratch_load_b128 v[9:12], v9, off
	s_waitcnt vmcnt(0)
	scratch_store_b128 off, v[9:12], off offset:16
	s_waitcnt_vscnt null, 0x0
	buffer_gl0_inv
	s_and_saveexec_b32 s3, s2
	s_cbranch_execz .LBB25_121
; %bb.120:                              ;   in Loop: Header=BB25_109 Depth=1
	scratch_load_b128 v[9:12], off, off offset:16
	s_waitcnt vmcnt(0)
	ds_store_2addr_b64 v21, v[9:10], v[11:12] offset1:1
.LBB25_121:                             ;   in Loop: Header=BB25_109 Depth=1
	s_or_b32 exec_lo, exec_lo, s3
	s_mov_b32 s8, -1
	s_mov_b32 s6, 0
	s_branch .LBB25_111
.LBB25_122:                             ;   in Loop: Header=BB25_109 Depth=1
	v_cmp_neq_f64_e32 vcc_lo, 0, v[1:2]
	v_cmp_neq_f64_e64 s3, 0, v[3:4]
	s_and_not1_b32 s8, s8, exec_lo
	s_mov_b32 s6, -1
	s_delay_alu instid0(VALU_DEP_1) | instskip(NEXT) | instid1(SALU_CYCLE_1)
	s_or_b32 s3, vcc_lo, s3
	s_and_b32 s3, s3, exec_lo
	s_delay_alu instid0(SALU_CYCLE_1) | instskip(NEXT) | instid1(SALU_CYCLE_1)
	s_or_b32 s8, s8, s3
                                        ; implicit-def: $vgpr11
	s_and_saveexec_b32 s3, s8
	s_delay_alu instid0(SALU_CYCLE_1)
	s_xor_b32 s8, exec_lo, s3
	s_cbranch_execz .LBB25_112
.LBB25_123:                             ;   in Loop: Header=BB25_109 Depth=1
	v_add_nc_u32_e32 v11, 1, v19
	s_mov_b32 s9, exec_lo
	s_delay_alu instid0(VALU_DEP_1) | instskip(NEXT) | instid1(VALU_DEP_1)
	v_add_nc_u32_e32 v12, v11, v5
	v_cmpx_gt_i32_e64 s23, v12
	s_cbranch_execz .LBB25_131
; %bb.124:                              ;   in Loop: Header=BB25_109 Depth=1
	v_add_nc_u32_e32 v13, v11, v16
	v_mad_u64_u32 v[9:10], null, 0x220, v19, v[6:7]
	v_mov_b32_e32 v10, v15
	s_mov_b32 s10, 0
	s_delay_alu instid0(VALU_DEP_3)
	v_cmp_gt_i32_e64 s3, s23, v13
	s_branch .LBB25_126
.LBB25_125:                             ;   in Loop: Header=BB25_126 Depth=2
	s_or_b32 exec_lo, exec_lo, s11
	v_add_nc_u32_e32 v12, 32, v12
	v_add_nc_u32_e32 v10, 0x200, v10
	s_delay_alu instid0(VALU_DEP_2) | instskip(SKIP_1) | instid1(SALU_CYCLE_1)
	v_cmp_le_i32_e32 vcc_lo, s23, v12
	s_or_b32 s10, vcc_lo, s10
	s_and_not1_b32 exec_lo, exec_lo, s10
	s_cbranch_execz .LBB25_131
.LBB25_126:                             ;   Parent Loop BB25_109 Depth=1
                                        ; =>  This Loop Header: Depth=2
                                        ;       Child Loop BB25_130 Depth 3
	scratch_load_b128 v[1:4], off, off offset:16
	v_lshl_add_u32 v14, v12, 4, v20
	s_waitcnt vmcnt(0)
	v_mul_f64 v[21:22], v[3:4], v[3:4]
	s_delay_alu instid0(VALU_DEP_1) | instskip(NEXT) | instid1(VALU_DEP_1)
	v_fma_f64 v[25:26], v[1:2], v[1:2], v[21:22]
	v_div_scale_f64 v[21:22], null, v[25:26], v[25:26], 1.0
	v_div_scale_f64 v[29:30], vcc_lo, 1.0, v[25:26], 1.0
	s_delay_alu instid0(VALU_DEP_2) | instskip(SKIP_2) | instid1(VALU_DEP_1)
	v_rcp_f64_e32 v[23:24], v[21:22]
	s_waitcnt_depctr 0xfff
	v_fma_f64 v[27:28], -v[21:22], v[23:24], 1.0
	v_fma_f64 v[23:24], v[23:24], v[27:28], v[23:24]
	s_delay_alu instid0(VALU_DEP_1) | instskip(NEXT) | instid1(VALU_DEP_1)
	v_fma_f64 v[27:28], -v[21:22], v[23:24], 1.0
	v_fma_f64 v[27:28], v[23:24], v[27:28], v[23:24]
	s_delay_alu instid0(VALU_DEP_1) | instskip(NEXT) | instid1(VALU_DEP_1)
	v_mul_f64 v[31:32], v[29:30], v[27:28]
	v_fma_f64 v[29:30], -v[21:22], v[31:32], v[29:30]
	ds_load_b128 v[21:24], v14
	s_waitcnt lgkmcnt(0)
	s_waitcnt_vscnt null, 0x0
	buffer_gl0_inv
	v_mul_f64 v[33:34], v[23:24], v[3:4]
	v_mul_f64 v[3:4], v[3:4], -v[21:22]
	v_div_fmas_f64 v[27:28], v[29:30], v[27:28], v[31:32]
	s_delay_alu instid0(VALU_DEP_3) | instskip(NEXT) | instid1(VALU_DEP_3)
	v_fma_f64 v[21:22], v[21:22], v[1:2], v[33:34]
	v_fma_f64 v[3:4], v[23:24], v[1:2], v[3:4]
	s_delay_alu instid0(VALU_DEP_3) | instskip(NEXT) | instid1(VALU_DEP_1)
	v_div_fixup_f64 v[25:26], v[27:28], v[25:26], 1.0
	v_mul_f64 v[1:2], v[21:22], v[25:26]
	s_delay_alu instid0(VALU_DEP_3)
	v_mul_f64 v[3:4], v[3:4], v[25:26]
	s_and_saveexec_b32 s11, s1
	s_cbranch_execz .LBB25_128
; %bb.127:                              ;   in Loop: Header=BB25_126 Depth=2
	ds_store_b128 v14, v[1:4]
.LBB25_128:                             ;   in Loop: Header=BB25_126 Depth=2
	s_or_b32 exec_lo, exec_lo, s11
	s_and_saveexec_b32 s11, s3
	s_cbranch_execz .LBB25_125
; %bb.129:                              ;   in Loop: Header=BB25_126 Depth=2
	v_mov_b32_e32 v14, v9
	v_mov_b32_e32 v21, v13
	s_mov_b32 s14, 0
	.p2align	6
.LBB25_130:                             ;   Parent Loop BB25_109 Depth=1
                                        ;     Parent Loop BB25_126 Depth=2
                                        ; =>    This Inner Loop Header: Depth=3
	s_delay_alu instid0(VALU_DEP_2) | instskip(NEXT) | instid1(VALU_DEP_2)
	v_add_nc_u32_e32 v30, v14, v10
	v_add_nc_u32_e32 v21, 2, v21
	ds_load_b128 v[22:25], v14
	ds_load_b128 v[26:29], v30 offset:16
	v_add_nc_u32_e32 v14, 0x420, v14
	v_cmp_le_i32_e32 vcc_lo, s23, v21
	s_or_b32 s14, vcc_lo, s14
	s_waitcnt lgkmcnt(0)
	v_fma_f64 v[26:27], -v[1:2], v[22:23], v[26:27]
	v_fma_f64 v[28:29], -v[3:4], v[22:23], v[28:29]
	s_delay_alu instid0(VALU_DEP_2) | instskip(NEXT) | instid1(VALU_DEP_2)
	v_fma_f64 v[22:23], v[3:4], v[24:25], v[26:27]
	v_fma_f64 v[24:25], -v[1:2], v[24:25], v[28:29]
	ds_store_b128 v30, v[22:25] offset:16
	s_and_not1_b32 exec_lo, exec_lo, s14
	s_cbranch_execnz .LBB25_130
	s_branch .LBB25_125
.LBB25_131:                             ;   in Loop: Header=BB25_109 Depth=1
	s_or_b32 exec_lo, exec_lo, s9
	s_delay_alu instid0(SALU_CYCLE_1)
	s_and_b32 s7, s7, exec_lo
	s_and_not1_b32 s6, s6, exec_lo
	s_or_b32 exec_lo, exec_lo, s8
	s_and_saveexec_b32 s3, s6
	s_cbranch_execz .LBB25_108
.LBB25_132:                             ;   in Loop: Header=BB25_109 Depth=1
	v_add_nc_u32_e32 v11, 1, v19
	s_or_b32 s7, s7, exec_lo
	s_branch .LBB25_108
.LBB25_133:
	s_or_b32 exec_lo, exec_lo, s5
	s_waitcnt lgkmcnt(0)
	s_waitcnt_vscnt null, 0x0
	buffer_gl0_inv
	s_and_saveexec_b32 s2, s0
	s_cbranch_execnz .LBB25_135
	s_branch .LBB25_144
.LBB25_134:
	s_mov_b32 s4, s7
	buffer_gl0_inv
	s_and_saveexec_b32 s2, s0
	s_cbranch_execz .LBB25_144
.LBB25_135:
	s_mul_i32 s3, s28, s23
	v_bfe_u32 v3, v0, 10, 10
	v_add_nc_u32_e32 v1, s3, v5
	s_cmp_lg_u32 s30, 0
	s_mov_b32 s5, 0
	s_cselect_b32 s6, -1, 0
	v_cmp_gt_u32_e64 s0, s23, v3
	v_mul_lo_u32 v4, s23, v1
	v_mad_u32_u24 v6, 0x210, v3, v15
	s_lshl_b32 s7, s23, 5
	s_set_inst_prefetch_distance 0x1
	s_branch .LBB25_137
	.p2align	6
.LBB25_136:                             ;   in Loop: Header=BB25_137 Depth=1
	s_or_b32 exec_lo, exec_lo, s8
	v_add_nc_u32_e32 v5, 32, v5
	v_add_nc_u32_e32 v4, s7, v4
	;; [unrolled: 1-line block ×3, first 2 shown]
	s_delay_alu instid0(VALU_DEP_3) | instskip(SKIP_1) | instid1(SALU_CYCLE_1)
	v_cmp_le_i32_e32 vcc_lo, s23, v5
	s_or_b32 s5, vcc_lo, s5
	s_and_not1_b32 exec_lo, exec_lo, s5
	s_cbranch_execz .LBB25_144
.LBB25_137:                             ; =>This Loop Header: Depth=1
                                        ;     Child Loop BB25_140 Depth 2
	s_and_saveexec_b32 s8, s0
	s_cbranch_execz .LBB25_136
; %bb.138:                              ;   in Loop: Header=BB25_137 Depth=1
	v_dual_mov_b32 v7, v6 :: v_dual_mov_b32 v8, v3
	s_mov_b32 s9, 0
	s_branch .LBB25_140
	.p2align	6
.LBB25_139:                             ;   in Loop: Header=BB25_140 Depth=2
	ds_load_2addr_b64 v[9:12], v7 offset1:1
	v_ashrrev_i32_e32 v2, 31, v1
	v_add_nc_u32_e32 v8, 2, v8
	v_add_nc_u32_e32 v7, 0x420, v7
	s_delay_alu instid0(VALU_DEP_3) | instskip(NEXT) | instid1(VALU_DEP_3)
	v_lshlrev_b64 v[1:2], 4, v[1:2]
	v_cmp_le_i32_e32 vcc_lo, s23, v8
	s_or_b32 s9, vcc_lo, s9
	s_delay_alu instid0(VALU_DEP_2) | instskip(NEXT) | instid1(VALU_DEP_1)
	v_add_co_u32 v1, s1, s12, v1
	v_add_co_ci_u32_e64 v2, s1, s13, v2, s1
	s_waitcnt lgkmcnt(0)
	global_store_b128 v[1:2], v[9:12], off
	s_and_not1_b32 exec_lo, exec_lo, s9
	s_cbranch_execz .LBB25_136
.LBB25_140:                             ;   Parent Loop BB25_137 Depth=1
                                        ; =>  This Inner Loop Header: Depth=2
	s_and_b32 vcc_lo, exec_lo, s6
	s_cbranch_vccz .LBB25_142
; %bb.141:                              ;   in Loop: Header=BB25_140 Depth=2
	v_add_nc_u32_e32 v9, s3, v8
	s_delay_alu instid0(VALU_DEP_1)
	v_mad_u64_u32 v[1:2], null, v9, s23, v[5:6]
	s_cbranch_execnz .LBB25_139
	s_branch .LBB25_143
	.p2align	6
.LBB25_142:                             ;   in Loop: Header=BB25_140 Depth=2
                                        ; implicit-def: $vgpr1
.LBB25_143:                             ;   in Loop: Header=BB25_140 Depth=2
	v_add_nc_u32_e32 v1, v4, v8
	s_branch .LBB25_139
.LBB25_144:
	s_set_inst_prefetch_distance 0x2
	s_or_b32 exec_lo, exec_lo, s2
	s_add_i32 s3, s28, 1
	s_delay_alu instid0(SALU_CYCLE_1)
	s_cmp_ge_i32 s3, s25
	s_cbranch_scc1 .LBB25_177
.LBB25_145:
	v_and_b32_e32 v1, 0x3ff, v0
	v_bfe_u32 v5, v0, 10, 10
	s_cmp_lg_u32 s30, 0
	s_mul_i32 s7, s23, s23
	s_cselect_b32 s5, -1, 0
	v_mad_u64_u32 v[2:3], null, s23, s3, v[1:2]
	v_mul_u32_u24_e32 v3, 0x210, v5
	v_lshlrev_b32_e32 v4, 4, v1
	v_mul_u32_u24_e32 v9, 0x210, v1
	v_lshlrev_b32_e32 v10, 4, v5
	s_cmp_gt_i32 s23, 0
	v_cmp_gt_i32_e64 s0, s23, v1
	v_cmp_gt_i32_e64 s1, s23, v5
	v_add_nc_u32_e32 v6, 1, v5
	v_mul_lo_u32 v7, s23, v2
	v_add3_u32 v8, v3, v4, 0x4200
	v_add3_u32 v9, v10, v9, 0x4210
	v_add_nc_u32_e32 v10, 16, v10
	s_cselect_b32 s6, -1, 0
	s_lshl_b32 s8, s23, 5
.LBB25_146:                             ; =>This Loop Header: Depth=1
                                        ;     Child Loop BB25_149 Depth 2
                                        ;       Child Loop BB25_152 Depth 3
                                        ;     Child Loop BB25_159 Depth 2
                                        ;       Child Loop BB25_162 Depth 3
                                        ;         Child Loop BB25_164 Depth 4
                                        ;     Child Loop BB25_168 Depth 2
                                        ;       Child Loop BB25_171 Depth 3
	s_mul_i32 s9, s3, s23
	s_waitcnt lgkmcnt(0)
	s_waitcnt_vscnt null, 0x0
	buffer_gl0_inv
	s_and_saveexec_b32 s2, s0
	s_cbranch_execz .LBB25_156
; %bb.147:                              ;   in Loop: Header=BB25_146 Depth=1
	v_dual_mov_b32 v11, v8 :: v_dual_mov_b32 v12, v7
	v_mov_b32_e32 v2, v1
	s_mov_b32 s10, 0
	s_set_inst_prefetch_distance 0x1
	s_branch .LBB25_149
	.p2align	6
.LBB25_148:                             ;   in Loop: Header=BB25_149 Depth=2
	s_or_b32 exec_lo, exec_lo, s11
	v_add_nc_u32_e32 v2, 32, v2
	v_add_nc_u32_e32 v12, s8, v12
	;; [unrolled: 1-line block ×3, first 2 shown]
	s_delay_alu instid0(VALU_DEP_3) | instskip(SKIP_1) | instid1(SALU_CYCLE_1)
	v_cmp_le_i32_e32 vcc_lo, s23, v2
	s_or_b32 s10, vcc_lo, s10
	s_and_not1_b32 exec_lo, exec_lo, s10
	s_cbranch_execz .LBB25_156
.LBB25_149:                             ;   Parent Loop BB25_146 Depth=1
                                        ; =>  This Loop Header: Depth=2
                                        ;       Child Loop BB25_152 Depth 3
	s_and_saveexec_b32 s11, s1
	s_cbranch_execz .LBB25_148
; %bb.150:                              ;   in Loop: Header=BB25_149 Depth=2
	v_dual_mov_b32 v13, v11 :: v_dual_mov_b32 v14, v5
	s_mov_b32 s14, 0
	s_branch .LBB25_152
	.p2align	6
.LBB25_151:                             ;   in Loop: Header=BB25_152 Depth=3
	s_delay_alu instid0(VALU_DEP_1) | instskip(SKIP_1) | instid1(VALU_DEP_2)
	v_ashrrev_i32_e32 v4, 31, v3
	v_add_nc_u32_e32 v14, 2, v14
	v_lshlrev_b64 v[3:4], 4, v[3:4]
	s_delay_alu instid0(VALU_DEP_1) | instskip(NEXT) | instid1(VALU_DEP_2)
	v_add_co_u32 v3, vcc_lo, s12, v3
	v_add_co_ci_u32_e32 v4, vcc_lo, s13, v4, vcc_lo
	s_delay_alu instid0(VALU_DEP_4)
	v_cmp_le_i32_e32 vcc_lo, s23, v14
	global_load_b128 v[15:18], v[3:4], off
	s_or_b32 s14, vcc_lo, s14
	s_waitcnt vmcnt(0)
	ds_store_2addr_b64 v13, v[15:16], v[17:18] offset1:1
	v_add_nc_u32_e32 v13, 0x420, v13
	s_and_not1_b32 exec_lo, exec_lo, s14
	s_cbranch_execz .LBB25_148
.LBB25_152:                             ;   Parent Loop BB25_146 Depth=1
                                        ;     Parent Loop BB25_149 Depth=2
                                        ; =>    This Inner Loop Header: Depth=3
	s_and_b32 vcc_lo, exec_lo, s5
	s_cbranch_vccz .LBB25_154
; %bb.153:                              ;   in Loop: Header=BB25_152 Depth=3
	v_add_nc_u32_e32 v15, s9, v14
	s_delay_alu instid0(VALU_DEP_1)
	v_mad_u64_u32 v[3:4], null, v15, s23, v[2:3]
	s_cbranch_execnz .LBB25_151
	s_branch .LBB25_155
	.p2align	6
.LBB25_154:                             ;   in Loop: Header=BB25_152 Depth=3
                                        ; implicit-def: $vgpr3
.LBB25_155:                             ;   in Loop: Header=BB25_152 Depth=3
	v_add_nc_u32_e32 v3, v12, v14
	s_branch .LBB25_151
.LBB25_156:                             ;   in Loop: Header=BB25_146 Depth=1
	s_set_inst_prefetch_distance 0x2
	s_or_b32 exec_lo, exec_lo, s2
	s_delay_alu instid0(SALU_CYCLE_1)
	s_and_not1_b32 vcc_lo, exec_lo, s6
	s_waitcnt lgkmcnt(0)
	buffer_gl0_inv
	s_cbranch_vccnz .LBB25_165
; %bb.157:                              ;   in Loop: Header=BB25_146 Depth=1
	v_dual_mov_b32 v2, v10 :: v_dual_mov_b32 v3, v9
	s_mov_b32 s10, 0
	s_branch .LBB25_159
.LBB25_158:                             ;   in Loop: Header=BB25_159 Depth=2
	s_set_inst_prefetch_distance 0x2
	s_or_b32 exec_lo, exec_lo, s11
	v_add_nc_u32_e32 v3, 16, v3
	v_add_nc_u32_e32 v2, 0x220, v2
	s_add_i32 s10, s10, 1
	s_delay_alu instid0(SALU_CYCLE_1)
	s_cmp_eq_u32 s10, s23
	s_cbranch_scc1 .LBB25_165
.LBB25_159:                             ;   Parent Loop BB25_146 Depth=1
                                        ; =>  This Loop Header: Depth=2
                                        ;       Child Loop BB25_162 Depth 3
                                        ;         Child Loop BB25_164 Depth 4
	s_and_saveexec_b32 s11, s0
	s_cbranch_execz .LBB25_158
; %bb.160:                              ;   in Loop: Header=BB25_159 Depth=2
	v_dual_mov_b32 v11, v3 :: v_dual_add_nc_u32 v4, s10, v6
	v_mov_b32_e32 v12, v1
	s_mov_b32 s14, 0
	s_lshl_b32 s15, s10, 4
	s_delay_alu instid0(VALU_DEP_2)
	v_cmp_gt_i32_e32 vcc_lo, s23, v4
	s_set_inst_prefetch_distance 0x1
	s_branch .LBB25_162
	.p2align	6
.LBB25_161:                             ;   in Loop: Header=BB25_162 Depth=3
	s_or_b32 exec_lo, exec_lo, s16
	v_add_nc_u32_e32 v12, 32, v12
	v_add_nc_u32_e32 v11, 0x4200, v11
	s_delay_alu instid0(VALU_DEP_2) | instskip(NEXT) | instid1(VALU_DEP_1)
	v_cmp_le_i32_e64 s2, s23, v12
	s_or_b32 s14, s2, s14
	s_delay_alu instid0(SALU_CYCLE_1)
	s_and_not1_b32 exec_lo, exec_lo, s14
	s_cbranch_execz .LBB25_158
.LBB25_162:                             ;   Parent Loop BB25_146 Depth=1
                                        ;     Parent Loop BB25_159 Depth=2
                                        ; =>    This Loop Header: Depth=3
                                        ;         Child Loop BB25_164 Depth 4
	s_and_saveexec_b32 s16, vcc_lo
	s_cbranch_execz .LBB25_161
; %bb.163:                              ;   in Loop: Header=BB25_162 Depth=3
	v_mul_lo_u32 v15, 0x210, v12
	v_dual_mov_b32 v13, v2 :: v_dual_mov_b32 v14, v11
	v_mov_b32_e32 v16, v4
	s_mov_b32 s17, 0
	s_delay_alu instid0(VALU_DEP_3)
	v_add3_u32 v15, 0x4200, s15, v15
	.p2align	6
.LBB25_164:                             ;   Parent Loop BB25_146 Depth=1
                                        ;     Parent Loop BB25_159 Depth=2
                                        ;       Parent Loop BB25_162 Depth=3
                                        ; =>      This Inner Loop Header: Depth=4
	ds_load_b128 v[17:20], v13
	ds_load_b128 v[21:24], v15
	;; [unrolled: 1-line block ×3, first 2 shown]
	v_add_nc_u32_e32 v16, 2, v16
	v_add_nc_u32_e32 v13, 32, v13
	s_delay_alu instid0(VALU_DEP_2) | instskip(NEXT) | instid1(VALU_DEP_1)
	v_cmp_le_i32_e64 s2, s23, v16
	s_or_b32 s17, s2, s17
	s_waitcnt lgkmcnt(0)
	v_fma_f64 v[25:26], -v[17:18], v[21:22], v[25:26]
	v_fma_f64 v[21:22], -v[19:20], v[21:22], v[27:28]
	s_delay_alu instid0(VALU_DEP_2) | instskip(NEXT) | instid1(VALU_DEP_2)
	v_fma_f64 v[19:20], v[19:20], v[23:24], v[25:26]
	v_fma_f64 v[21:22], -v[17:18], v[23:24], v[21:22]
	ds_store_b128 v14, v[19:22]
	v_add_nc_u32_e32 v14, 32, v14
	s_and_not1_b32 exec_lo, exec_lo, s17
	s_cbranch_execnz .LBB25_164
	s_branch .LBB25_161
.LBB25_165:                             ;   in Loop: Header=BB25_146 Depth=1
	s_waitcnt lgkmcnt(0)
	buffer_gl0_inv
	s_and_saveexec_b32 s10, s0
	s_cbranch_execz .LBB25_175
; %bb.166:                              ;   in Loop: Header=BB25_146 Depth=1
	v_dual_mov_b32 v11, v8 :: v_dual_mov_b32 v12, v7
	v_mov_b32_e32 v2, v1
	s_mov_b32 s11, 0
	s_set_inst_prefetch_distance 0x1
	s_branch .LBB25_168
	.p2align	6
.LBB25_167:                             ;   in Loop: Header=BB25_168 Depth=2
	s_or_b32 exec_lo, exec_lo, s14
	v_add_nc_u32_e32 v2, 32, v2
	v_add_nc_u32_e32 v12, s8, v12
	;; [unrolled: 1-line block ×3, first 2 shown]
	s_delay_alu instid0(VALU_DEP_3) | instskip(SKIP_1) | instid1(SALU_CYCLE_1)
	v_cmp_le_i32_e32 vcc_lo, s23, v2
	s_or_b32 s11, vcc_lo, s11
	s_and_not1_b32 exec_lo, exec_lo, s11
	s_cbranch_execz .LBB25_175
.LBB25_168:                             ;   Parent Loop BB25_146 Depth=1
                                        ; =>  This Loop Header: Depth=2
                                        ;       Child Loop BB25_171 Depth 3
	s_and_saveexec_b32 s14, s1
	s_cbranch_execz .LBB25_167
; %bb.169:                              ;   in Loop: Header=BB25_168 Depth=2
	v_dual_mov_b32 v13, v11 :: v_dual_mov_b32 v14, v5
	s_mov_b32 s15, 0
	s_branch .LBB25_171
	.p2align	6
.LBB25_170:                             ;   in Loop: Header=BB25_171 Depth=3
	ds_load_2addr_b64 v[15:18], v13 offset1:1
	v_ashrrev_i32_e32 v4, 31, v3
	v_add_nc_u32_e32 v14, 2, v14
	v_add_nc_u32_e32 v13, 0x420, v13
	s_delay_alu instid0(VALU_DEP_3) | instskip(NEXT) | instid1(VALU_DEP_3)
	v_lshlrev_b64 v[3:4], 4, v[3:4]
	v_cmp_le_i32_e32 vcc_lo, s23, v14
	s_or_b32 s15, vcc_lo, s15
	s_delay_alu instid0(VALU_DEP_2) | instskip(NEXT) | instid1(VALU_DEP_1)
	v_add_co_u32 v3, s2, s12, v3
	v_add_co_ci_u32_e64 v4, s2, s13, v4, s2
	s_waitcnt lgkmcnt(0)
	global_store_b128 v[3:4], v[15:18], off
	s_and_not1_b32 exec_lo, exec_lo, s15
	s_cbranch_execz .LBB25_167
.LBB25_171:                             ;   Parent Loop BB25_146 Depth=1
                                        ;     Parent Loop BB25_168 Depth=2
                                        ; =>    This Inner Loop Header: Depth=3
	s_and_b32 vcc_lo, exec_lo, s5
	s_cbranch_vccz .LBB25_173
; %bb.172:                              ;   in Loop: Header=BB25_171 Depth=3
	v_add_nc_u32_e32 v15, s9, v14
	s_delay_alu instid0(VALU_DEP_1)
	v_mad_u64_u32 v[3:4], null, v15, s23, v[2:3]
	s_cbranch_execnz .LBB25_170
	s_branch .LBB25_174
	.p2align	6
.LBB25_173:                             ;   in Loop: Header=BB25_171 Depth=3
                                        ; implicit-def: $vgpr3
.LBB25_174:                             ;   in Loop: Header=BB25_171 Depth=3
	v_add_nc_u32_e32 v3, v12, v14
	s_branch .LBB25_170
.LBB25_175:                             ;   in Loop: Header=BB25_146 Depth=1
	s_set_inst_prefetch_distance 0x2
	s_or_b32 exec_lo, exec_lo, s10
; %bb.176:                              ;   in Loop: Header=BB25_146 Depth=1
	v_add_nc_u32_e32 v7, s7, v7
	s_add_i32 s3, s3, 1
	s_delay_alu instid0(SALU_CYCLE_1)
	s_cmp_ge_i32 s3, s25
	s_cbranch_scc0 .LBB25_146
.LBB25_177:
	v_and_b32_e32 v1, 0x3ff, v0
	v_bfe_u32 v0, v0, 10, 10
	s_mov_b32 s0, exec_lo
	s_delay_alu instid0(VALU_DEP_1) | instskip(NEXT) | instid1(VALU_DEP_1)
	v_or_b32_e32 v0, v1, v0
	v_cmpx_eq_u32_e32 0, v0
	s_cbranch_execz .LBB25_181
; %bb.178:
	v_dual_mov_b32 v0, 0 :: v_dual_mov_b32 v1, 1
	s_add_u32 s0, s20, s26
	s_addc_u32 s1, s21, s27
	s_waitcnt_vscnt null, 0x0
	global_store_b32 v0, v1, s[0:1]
	s_and_b32 exec_lo, exec_lo, s4
	s_cbranch_execz .LBB25_181
; %bb.179:
	v_mbcnt_lo_u32_b32 v0, exec_lo, 0
	s_delay_alu instid0(VALU_DEP_1)
	v_cmp_eq_u32_e32 vcc_lo, 0, v0
	s_and_b32 exec_lo, exec_lo, vcc_lo
	s_cbranch_execz .LBB25_181
; %bb.180:
	s_add_i32 s0, s22, s24
	s_delay_alu instid0(SALU_CYCLE_1)
	v_dual_mov_b32 v0, 0 :: v_dual_mov_b32 v1, s0
	global_atomic_min_i32 v0, v1, s[18:19]
.LBB25_181:
	s_endpgm
	.section	.rodata,"a",@progbits
	.p2align	6, 0x0
	.amdhsa_kernel _ZN9rocsparseL12bsrilu0_9_32ILj64ELj64ELj32E21rocsparse_complex_numIdEEEv20rocsparse_direction_iPKiS5_PT2_S5_iPiS5_S8_21rocsparse_index_base_imNS_24const_host_device_scalarIfEENSA_IdEENSA_IS6_EEb
		.amdhsa_group_segment_fixed_size 33792
		.amdhsa_private_segment_fixed_size 48
		.amdhsa_kernarg_size 124
		.amdhsa_user_sgpr_count 15
		.amdhsa_user_sgpr_dispatch_ptr 0
		.amdhsa_user_sgpr_queue_ptr 0
		.amdhsa_user_sgpr_kernarg_segment_ptr 1
		.amdhsa_user_sgpr_dispatch_id 0
		.amdhsa_user_sgpr_private_segment_size 0
		.amdhsa_wavefront_size32 1
		.amdhsa_uses_dynamic_stack 0
		.amdhsa_enable_private_segment 1
		.amdhsa_system_sgpr_workgroup_id_x 1
		.amdhsa_system_sgpr_workgroup_id_y 0
		.amdhsa_system_sgpr_workgroup_id_z 0
		.amdhsa_system_sgpr_workgroup_info 0
		.amdhsa_system_vgpr_workitem_id 1
		.amdhsa_next_free_vgpr 45
		.amdhsa_next_free_sgpr 47
		.amdhsa_reserve_vcc 1
		.amdhsa_float_round_mode_32 0
		.amdhsa_float_round_mode_16_64 0
		.amdhsa_float_denorm_mode_32 3
		.amdhsa_float_denorm_mode_16_64 3
		.amdhsa_dx10_clamp 1
		.amdhsa_ieee_mode 1
		.amdhsa_fp16_overflow 0
		.amdhsa_workgroup_processor_mode 1
		.amdhsa_memory_ordered 1
		.amdhsa_forward_progress 0
		.amdhsa_shared_vgpr_count 0
		.amdhsa_exception_fp_ieee_invalid_op 0
		.amdhsa_exception_fp_denorm_src 0
		.amdhsa_exception_fp_ieee_div_zero 0
		.amdhsa_exception_fp_ieee_overflow 0
		.amdhsa_exception_fp_ieee_underflow 0
		.amdhsa_exception_fp_ieee_inexact 0
		.amdhsa_exception_int_div_zero 0
	.end_amdhsa_kernel
	.section	.text._ZN9rocsparseL12bsrilu0_9_32ILj64ELj64ELj32E21rocsparse_complex_numIdEEEv20rocsparse_direction_iPKiS5_PT2_S5_iPiS5_S8_21rocsparse_index_base_imNS_24const_host_device_scalarIfEENSA_IdEENSA_IS6_EEb,"axG",@progbits,_ZN9rocsparseL12bsrilu0_9_32ILj64ELj64ELj32E21rocsparse_complex_numIdEEEv20rocsparse_direction_iPKiS5_PT2_S5_iPiS5_S8_21rocsparse_index_base_imNS_24const_host_device_scalarIfEENSA_IdEENSA_IS6_EEb,comdat
.Lfunc_end25:
	.size	_ZN9rocsparseL12bsrilu0_9_32ILj64ELj64ELj32E21rocsparse_complex_numIdEEEv20rocsparse_direction_iPKiS5_PT2_S5_iPiS5_S8_21rocsparse_index_base_imNS_24const_host_device_scalarIfEENSA_IdEENSA_IS6_EEb, .Lfunc_end25-_ZN9rocsparseL12bsrilu0_9_32ILj64ELj64ELj32E21rocsparse_complex_numIdEEEv20rocsparse_direction_iPKiS5_PT2_S5_iPiS5_S8_21rocsparse_index_base_imNS_24const_host_device_scalarIfEENSA_IdEENSA_IS6_EEb
                                        ; -- End function
	.section	.AMDGPU.csdata,"",@progbits
; Kernel info:
; codeLenInByte = 6604
; NumSgprs: 49
; NumVgprs: 45
; ScratchSize: 48
; MemoryBound: 0
; FloatMode: 240
; IeeeMode: 1
; LDSByteSize: 33792 bytes/workgroup (compile time only)
; SGPRBlocks: 6
; VGPRBlocks: 5
; NumSGPRsForWavesPerEU: 49
; NumVGPRsForWavesPerEU: 45
; Occupancy: 2
; WaveLimiterHint : 1
; COMPUTE_PGM_RSRC2:SCRATCH_EN: 1
; COMPUTE_PGM_RSRC2:USER_SGPR: 15
; COMPUTE_PGM_RSRC2:TRAP_HANDLER: 0
; COMPUTE_PGM_RSRC2:TGID_X_EN: 1
; COMPUTE_PGM_RSRC2:TGID_Y_EN: 0
; COMPUTE_PGM_RSRC2:TGID_Z_EN: 0
; COMPUTE_PGM_RSRC2:TIDIG_COMP_CNT: 1
	.section	.text._ZN9rocsparseL15bsrilu0_generalILj128ELj64ELb0E21rocsparse_complex_numIdEEEv20rocsparse_direction_iPKiS5_PT2_S5_iPiS5_S8_21rocsparse_index_base_imNS_24const_host_device_scalarIfEENSA_IdEENSA_IS6_EEb,"axG",@progbits,_ZN9rocsparseL15bsrilu0_generalILj128ELj64ELb0E21rocsparse_complex_numIdEEEv20rocsparse_direction_iPKiS5_PT2_S5_iPiS5_S8_21rocsparse_index_base_imNS_24const_host_device_scalarIfEENSA_IdEENSA_IS6_EEb,comdat
	.globl	_ZN9rocsparseL15bsrilu0_generalILj128ELj64ELb0E21rocsparse_complex_numIdEEEv20rocsparse_direction_iPKiS5_PT2_S5_iPiS5_S8_21rocsparse_index_base_imNS_24const_host_device_scalarIfEENSA_IdEENSA_IS6_EEb ; -- Begin function _ZN9rocsparseL15bsrilu0_generalILj128ELj64ELb0E21rocsparse_complex_numIdEEEv20rocsparse_direction_iPKiS5_PT2_S5_iPiS5_S8_21rocsparse_index_base_imNS_24const_host_device_scalarIfEENSA_IdEENSA_IS6_EEb
	.p2align	8
	.type	_ZN9rocsparseL15bsrilu0_generalILj128ELj64ELb0E21rocsparse_complex_numIdEEEv20rocsparse_direction_iPKiS5_PT2_S5_iPiS5_S8_21rocsparse_index_base_imNS_24const_host_device_scalarIfEENSA_IdEENSA_IS6_EEb,@function
_ZN9rocsparseL15bsrilu0_generalILj128ELj64ELb0E21rocsparse_complex_numIdEEEv20rocsparse_direction_iPKiS5_PT2_S5_iPiS5_S8_21rocsparse_index_base_imNS_24const_host_device_scalarIfEENSA_IdEENSA_IS6_EEb: ; @_ZN9rocsparseL15bsrilu0_generalILj128ELj64ELb0E21rocsparse_complex_numIdEEEv20rocsparse_direction_iPKiS5_PT2_S5_iPiS5_S8_21rocsparse_index_base_imNS_24const_host_device_scalarIfEENSA_IdEENSA_IS6_EEb
; %bb.0:
	s_load_b32 s8, s[2:3], 0x78
	s_load_b64 s[6:7], s[0:1], 0x4
	s_clause 0x1
	s_load_b64 s[24:25], s[2:3], 0x48
	s_load_b256 s[16:23], s[2:3], 0x50
	v_bfe_u32 v1, v0, 10, 10
	s_load_b64 s[4:5], s[2:3], 0x70
	v_and_b32_e32 v4, 0x3ff, v0
	v_bfe_u32 v2, v0, 20, 10
	s_waitcnt lgkmcnt(0)
	s_bitcmp1_b32 s8, 0
	v_mul_u32_u24_e32 v0, s7, v1
	s_cselect_b32 s0, -1, 0
	s_lshr_b32 s1, s6, 16
	s_cmp_lg_u32 s25, 0
	s_mul_i32 s6, s1, s7
	s_cselect_b32 s1, -1, 0
	v_mad_u32_u24 v3, s6, v4, v0
	s_cmp_eq_u32 s25, 0
	v_dual_mov_b32 v0, s22 :: v_dual_mov_b32 v1, s23
	s_cselect_b32 s9, -1, 0
	s_delay_alu instid0(VALU_DEP_2)
	v_add_lshl_u32 v5, v3, v2, 3
	s_and_b32 s6, s9, exec_lo
	s_cselect_b32 s6, 0, s20
	s_cselect_b32 s7, 0, s21
	s_or_b32 s10, s9, s0
	ds_store_b64 v5, v[0:1]
	s_xor_b32 s8, s10, -1
	s_and_b32 vcc_lo, exec_lo, s10
	s_cbranch_vccnz .LBB26_2
; %bb.1:
	s_load_b32 s6, s[18:19], 0x0
	s_waitcnt lgkmcnt(0)
	v_mov_b32_e32 v35, s6
	s_mov_b64 s[6:7], s[20:21]
	s_delay_alu instid0(SALU_CYCLE_1)
	v_dual_mov_b32 v23, s7 :: v_dual_mov_b32 v22, s6
	s_and_not1_b32 vcc_lo, exec_lo, s8
	s_cbranch_vccz .LBB26_3
	s_branch .LBB26_4
.LBB26_2:
	v_cndmask_b32_e64 v35, s18, 0, s9
	v_dual_mov_b32 v23, s7 :: v_dual_mov_b32 v22, s6
	s_and_not1_b32 vcc_lo, exec_lo, s8
	s_cbranch_vccnz .LBB26_4
.LBB26_3:
	v_dual_mov_b32 v0, s20 :: v_dual_mov_b32 v1, s21
	flat_load_b64 v[22:23], v[0:1]
.LBB26_4:
	v_mov_b32_e32 v0, 0
	v_mov_b32_e32 v1, 0
	v_cndmask_b32_e64 v34, 0, 1, s1
	s_and_not1_b32 vcc_lo, exec_lo, s1
	s_delay_alu instid0(VALU_DEP_2)
	v_dual_mov_b32 v3, v1 :: v_dual_mov_b32 v2, v0
	s_cbranch_vccnz .LBB26_7
; %bb.5:
	s_mov_b64 s[6:7], src_shared_base
	s_xor_b32 s1, s0, -1
	s_and_b32 s6, s0, exec_lo
	s_cselect_b32 s6, s7, s23
	v_cndmask_b32_e64 v0, s22, v5, s0
	v_dual_mov_b32 v1, s6 :: v_dual_mov_b32 v2, s4
	v_mov_b32_e32 v3, s5
	s_and_not1_b32 vcc_lo, exec_lo, s1
	flat_load_b64 v[0:1], v[0:1]
	s_cbranch_vccnz .LBB26_7
; %bb.6:
	v_dual_mov_b32 v2, s22 :: v_dual_mov_b32 v3, s23
	flat_load_b64 v[2:3], v[2:3] offset:8
.LBB26_7:
	s_load_b64 s[20:21], s[2:3], 0x0
	v_lshrrev_b32_e32 v5, 6, v4
	s_lshl_b32 s0, s15, 1
	s_waitcnt vmcnt(0) lgkmcnt(0)
	scratch_store_b128 off, v[0:3], off
	v_and_or_b32 v5, 0x3fffffe, s0, v5
	s_mov_b32 s0, exec_lo
	s_delay_alu instid0(VALU_DEP_1)
	v_cmpx_gt_i32_e64 s21, v5
	s_cbranch_execz .LBB26_158
; %bb.8:
	s_clause 0x1
	s_load_b128 s[12:15], s[2:3], 0x30
	s_load_b64 s[18:19], s[2:3], 0x40
	v_lshlrev_b32_e32 v0, 2, v5
	s_load_b256 s[4:11], s[2:3], 0x8
	v_and_b32_e32 v19, 63, v4
	s_mov_b32 s0, -1
	s_waitcnt lgkmcnt(0)
	global_load_b32 v16, v0, s[14:15]
	s_mov_b32 s15, exec_lo
	s_waitcnt vmcnt(0)
	v_ashrrev_i32_e32 v17, 31, v16
	s_delay_alu instid0(VALU_DEP_1) | instskip(NEXT) | instid1(VALU_DEP_1)
	v_lshlrev_b64 v[17:18], 2, v[16:17]
	v_add_co_u32 v0, vcc_lo, s10, v17
	s_delay_alu instid0(VALU_DEP_2)
	v_add_co_ci_u32_e32 v1, vcc_lo, s11, v18, vcc_lo
	global_load_b32 v20, v[0:1], off
	s_waitcnt vmcnt(0)
	v_cmpx_ne_u32_e32 -1, v20
	s_cbranch_execz .LBB26_152
; %bb.9:
	v_add_co_u32 v0, vcc_lo, s4, v17
	v_add_co_ci_u32_e32 v1, vcc_lo, s5, v18, vcc_lo
	s_load_b32 s14, s[2:3], 0x28
	s_mov_b32 s3, 0
	s_mov_b32 s22, exec_lo
	global_load_b64 v[0:1], v[0:1], off
	s_waitcnt vmcnt(0)
	v_subrev_nc_u32_e32 v24, s24, v0
	v_subrev_nc_u32_e32 v33, s24, v1
	s_delay_alu instid0(VALU_DEP_2)
	v_cmpx_lt_i32_e64 v24, v20
	s_cbranch_execz .LBB26_81
; %bb.10:
	v_add_nc_u32_e32 v26, v24, v19
	s_waitcnt lgkmcnt(0)
	v_mad_u64_u32 v[2:3], null, s14, v24, v[19:20]
	s_cmp_gt_i32 s14, 0
	v_cmp_gt_i32_e64 s0, s14, v19
	v_ashrrev_i32_e32 v27, 31, v26
	s_cselect_b32 s23, -1, 0
	s_cmp_lg_u32 s20, 0
	v_cmp_le_i32_e64 s1, s14, v19
	s_delay_alu instid0(VALU_DEP_4)
	v_mul_lo_u32 v36, s14, v2
	v_lshlrev_b64 v[0:1], 2, v[26:27]
	s_cselect_b32 s26, -1, 0
	s_add_i32 s21, s21, 1
	v_cmp_lt_i32_e64 s2, v26, v33
	s_add_u32 s27, s4, 4
	s_addc_u32 s28, s5, 0
	v_add_co_u32 v27, vcc_lo, s6, v0
	v_add_co_ci_u32_e32 v28, vcc_lo, s7, v1, vcc_lo
	s_add_u32 s29, s6, 0x100
	s_mov_b32 s25, 0
	s_addc_u32 s30, s7, 0
	s_mul_i32 s31, s14, s14
	s_lshl_b32 s33, s14, 6
	s_mov_b32 s34, 0
                                        ; implicit-def: $sgpr35
                                        ; implicit-def: $sgpr36
	s_branch .LBB26_13
.LBB26_11:                              ;   in Loop: Header=BB26_13 Depth=1
	s_or_b32 exec_lo, exec_lo, s4
	s_delay_alu instid0(SALU_CYCLE_1) | instskip(SKIP_1) | instid1(SALU_CYCLE_1)
	s_and_not1_b32 s4, s36, exec_lo
	s_and_b32 s5, s25, exec_lo
	s_or_b32 s36, s4, s5
.LBB26_12:                              ;   in Loop: Header=BB26_13 Depth=1
	s_or_b32 exec_lo, exec_lo, s37
	v_add_nc_u32_e32 v24, 1, v24
	s_xor_b32 s3, s3, -1
	v_add_nc_u32_e32 v36, s31, v36
	s_mov_b32 s25, s36
	s_delay_alu instid0(VALU_DEP_2) | instskip(SKIP_1) | instid1(SALU_CYCLE_1)
	v_cmp_ge_i32_e32 vcc_lo, v24, v20
	s_or_b32 s3, s3, vcc_lo
	s_and_b32 s3, exec_lo, s3
	s_delay_alu instid0(SALU_CYCLE_1) | instskip(SKIP_2) | instid1(SALU_CYCLE_1)
	s_or_b32 s34, s3, s34
	s_and_not1_b32 s3, s35, exec_lo
	s_and_b32 s4, s36, exec_lo
	s_or_b32 s35, s3, s4
	s_and_not1_b32 exec_lo, exec_lo, s34
	s_cbranch_execz .LBB26_80
.LBB26_13:                              ; =>This Loop Header: Depth=1
                                        ;     Child Loop BB26_16 Depth 2
                                        ;     Child Loop BB26_21 Depth 2
                                        ;       Child Loop BB26_26 Depth 3
                                        ;         Child Loop BB26_36 Depth 4
                                        ;     Child Loop BB26_54 Depth 2
                                        ;       Child Loop BB26_59 Depth 3
                                        ;       Child Loop BB26_66 Depth 3
                                        ;         Child Loop BB26_69 Depth 4
                                        ;           Child Loop BB26_71 Depth 5
	v_ashrrev_i32_e32 v25, 31, v24
	s_or_b32 s36, s36, exec_lo
	s_waitcnt lgkmcnt(0)
	s_delay_alu instid0(VALU_DEP_1) | instskip(NEXT) | instid1(VALU_DEP_1)
	v_lshlrev_b64 v[0:1], 2, v[24:25]
	v_add_co_u32 v0, vcc_lo, s6, v0
	s_delay_alu instid0(VALU_DEP_2) | instskip(SKIP_3) | instid1(VALU_DEP_1)
	v_add_co_ci_u32_e32 v1, vcc_lo, s7, v1, vcc_lo
	global_load_b32 v0, v[0:1], off
	s_waitcnt vmcnt(0)
	v_subrev_nc_u32_e32 v0, s24, v0
	v_ashrrev_i32_e32 v1, 31, v0
	s_delay_alu instid0(VALU_DEP_1) | instskip(NEXT) | instid1(VALU_DEP_1)
	v_lshlrev_b64 v[0:1], 2, v[0:1]
	v_add_co_u32 v2, vcc_lo, s10, v0
	s_delay_alu instid0(VALU_DEP_2) | instskip(SKIP_3) | instid1(VALU_DEP_1)
	v_add_co_ci_u32_e32 v3, vcc_lo, s11, v1, vcc_lo
	global_load_b32 v38, v[2:3], off
	s_waitcnt vmcnt(0)
	v_cmp_ne_u32_e64 s3, -1, v38
	s_and_saveexec_b32 s37, s3
	s_cbranch_execz .LBB26_12
; %bb.14:                               ;   in Loop: Header=BB26_13 Depth=1
	v_add_co_u32 v2, vcc_lo, s27, v0
	v_add_co_ci_u32_e32 v3, vcc_lo, s28, v1, vcc_lo
	v_add_co_u32 v0, vcc_lo, s12, v0
	v_add_co_ci_u32_e32 v1, vcc_lo, s13, v1, vcc_lo
	s_mov_b32 s4, exec_lo
	global_load_b32 v39, v[2:3], off
	global_load_b32 v2, v[0:1], off glc
	s_waitcnt vmcnt(0)
	v_cmpx_eq_u32_e32 0, v2
	s_cbranch_execz .LBB26_17
; %bb.15:                               ;   in Loop: Header=BB26_13 Depth=1
	s_mov_b32 s5, 0
.LBB26_16:                              ;   Parent Loop BB26_13 Depth=1
                                        ; =>  This Inner Loop Header: Depth=2
	global_load_b32 v2, v[0:1], off glc
	s_waitcnt vmcnt(0)
	v_cmp_ne_u32_e32 vcc_lo, 0, v2
	s_or_b32 s5, vcc_lo, s5
	s_delay_alu instid0(SALU_CYCLE_1)
	s_and_not1_b32 exec_lo, exec_lo, s5
	s_cbranch_execnz .LBB26_16
.LBB26_17:                              ;   in Loop: Header=BB26_13 Depth=1
	s_or_b32 exec_lo, exec_lo, s4
	v_mul_lo_u32 v37, v24, s14
	s_and_not1_b32 vcc_lo, exec_lo, s23
	s_waitcnt_vscnt null, 0x0
	buffer_gl1_inv
	buffer_gl0_inv
	s_cbranch_vccnz .LBB26_50
; %bb.18:                               ;   in Loop: Header=BB26_13 Depth=1
	v_mul_lo_u32 v40, v38, s14
	v_mov_b32_e32 v21, 0
	s_mov_b32 s38, 0
	s_branch .LBB26_21
.LBB26_19:                              ;   in Loop: Header=BB26_21 Depth=2
	s_or_b32 exec_lo, exec_lo, s40
	v_mov_b32_e32 v21, v41
.LBB26_20:                              ;   in Loop: Header=BB26_21 Depth=2
	s_or_b32 exec_lo, exec_lo, s39
	s_delay_alu instid0(VALU_DEP_1) | instskip(SKIP_1) | instid1(SALU_CYCLE_1)
	v_cmp_eq_u32_e32 vcc_lo, s14, v21
	s_or_b32 s38, vcc_lo, s38
	s_and_not1_b32 exec_lo, exec_lo, s38
	s_cbranch_execz .LBB26_49
.LBB26_21:                              ;   Parent Loop BB26_13 Depth=1
                                        ; =>  This Loop Header: Depth=2
                                        ;       Child Loop BB26_26 Depth 3
                                        ;         Child Loop BB26_36 Depth 4
	s_delay_alu instid0(VALU_DEP_1) | instskip(SKIP_1) | instid1(SALU_CYCLE_1)
	v_add_nc_u32_e32 v41, 1, v21
	s_and_saveexec_b32 s4, s1
	s_xor_b32 s4, exec_lo, s4
; %bb.22:                               ;   in Loop: Header=BB26_21 Depth=2
	v_add_nc_u32_e32 v21, 1, v21
                                        ; implicit-def: $vgpr41
; %bb.23:                               ;   in Loop: Header=BB26_21 Depth=2
	s_and_not1_saveexec_b32 s39, s4
	s_cbranch_execz .LBB26_20
; %bb.24:                               ;   in Loop: Header=BB26_21 Depth=2
	s_delay_alu instid0(VALU_DEP_1) | instskip(SKIP_3) | instid1(VALU_DEP_3)
	v_dual_mov_b32 v25, v19 :: v_dual_add_nc_u32 v0, v21, v40
	v_cmp_gt_i32_e64 s4, s14, v41
	v_mov_b32_e32 v44, v36
	s_mov_b32 s40, 0
	v_mul_lo_u32 v42, v0, s14
	s_delay_alu instid0(VALU_DEP_1) | instskip(NEXT) | instid1(VALU_DEP_1)
	v_add_nc_u32_e32 v0, v42, v21
	v_ashrrev_i32_e32 v1, 31, v0
	s_delay_alu instid0(VALU_DEP_1) | instskip(NEXT) | instid1(VALU_DEP_1)
	v_lshlrev_b64 v[0:1], 4, v[0:1]
	v_add_co_u32 v0, vcc_lo, s8, v0
	s_delay_alu instid0(VALU_DEP_2) | instskip(SKIP_3) | instid1(VALU_DEP_1)
	v_add_co_ci_u32_e32 v1, vcc_lo, s9, v1, vcc_lo
	global_load_b128 v[0:3], v[0:1], off
	s_waitcnt vmcnt(0)
	v_mul_f64 v[4:5], v[2:3], v[2:3]
	v_fma_f64 v[4:5], v[0:1], v[0:1], v[4:5]
	s_delay_alu instid0(VALU_DEP_1) | instskip(NEXT) | instid1(VALU_DEP_1)
	v_div_scale_f64 v[6:7], null, v[4:5], v[4:5], 1.0
	v_rcp_f64_e32 v[8:9], v[6:7]
	s_waitcnt_depctr 0xfff
	v_fma_f64 v[10:11], -v[6:7], v[8:9], 1.0
	s_delay_alu instid0(VALU_DEP_1) | instskip(NEXT) | instid1(VALU_DEP_1)
	v_fma_f64 v[8:9], v[8:9], v[10:11], v[8:9]
	v_fma_f64 v[10:11], -v[6:7], v[8:9], 1.0
	s_delay_alu instid0(VALU_DEP_1) | instskip(SKIP_1) | instid1(VALU_DEP_1)
	v_fma_f64 v[8:9], v[8:9], v[10:11], v[8:9]
	v_div_scale_f64 v[10:11], vcc_lo, 1.0, v[4:5], 1.0
	v_mul_f64 v[12:13], v[10:11], v[8:9]
	s_delay_alu instid0(VALU_DEP_1) | instskip(NEXT) | instid1(VALU_DEP_1)
	v_fma_f64 v[6:7], -v[6:7], v[12:13], v[10:11]
	v_div_fmas_f64 v[6:7], v[6:7], v[8:9], v[12:13]
	s_delay_alu instid0(VALU_DEP_1) | instskip(SKIP_1) | instid1(VALU_DEP_1)
	v_div_fixup_f64 v[29:30], v[6:7], v[4:5], 1.0
	v_add_nc_u32_e32 v4, v21, v37
	v_mul_lo_u32 v43, v4, s14
	s_branch .LBB26_26
.LBB26_25:                              ;   in Loop: Header=BB26_26 Depth=3
	s_or_b32 exec_lo, exec_lo, s41
	v_add_nc_u32_e32 v25, 64, v25
	v_add_nc_u32_e32 v44, s33, v44
	s_delay_alu instid0(VALU_DEP_2) | instskip(SKIP_1) | instid1(SALU_CYCLE_1)
	v_cmp_le_i32_e32 vcc_lo, s14, v25
	s_or_b32 s40, vcc_lo, s40
	s_and_not1_b32 exec_lo, exec_lo, s40
	s_cbranch_execz .LBB26_19
.LBB26_26:                              ;   Parent Loop BB26_13 Depth=1
                                        ;     Parent Loop BB26_21 Depth=2
                                        ; =>    This Loop Header: Depth=3
                                        ;         Child Loop BB26_36 Depth 4
	s_delay_alu instid0(VALU_DEP_1)
	v_add_nc_u32_e32 v8, v25, v43
	s_and_b32 vcc_lo, exec_lo, s26
	s_cbranch_vccz .LBB26_47
; %bb.27:                               ;   in Loop: Header=BB26_26 Depth=3
	v_add_nc_u32_e32 v4, v25, v43
	v_add_nc_u32_e32 v10, v25, v37
	s_cbranch_execnz .LBB26_29
.LBB26_28:                              ;   in Loop: Header=BB26_26 Depth=3
	s_delay_alu instid0(VALU_DEP_1)
	v_mad_u64_u32 v[4:5], null, v10, s14, v[21:22]
.LBB26_29:                              ;   in Loop: Header=BB26_26 Depth=3
	s_delay_alu instid0(VALU_DEP_1) | instskip(NEXT) | instid1(VALU_DEP_1)
	v_ashrrev_i32_e32 v5, 31, v4
	v_lshlrev_b64 v[4:5], 4, v[4:5]
	s_delay_alu instid0(VALU_DEP_1) | instskip(NEXT) | instid1(VALU_DEP_2)
	v_add_co_u32 v4, vcc_lo, s8, v4
	v_add_co_ci_u32_e32 v5, vcc_lo, s9, v5, vcc_lo
	s_and_b32 vcc_lo, exec_lo, s26
	global_load_b128 v[4:7], v[4:5], off
	s_cbranch_vccz .LBB26_48
; %bb.30:                               ;   in Loop: Header=BB26_26 Depth=3
	s_cbranch_execnz .LBB26_32
.LBB26_31:                              ;   in Loop: Header=BB26_26 Depth=3
	v_mad_u64_u32 v[8:9], null, v10, s14, v[21:22]
.LBB26_32:                              ;   in Loop: Header=BB26_26 Depth=3
	s_waitcnt vmcnt(0)
	v_mul_f64 v[9:10], v[2:3], v[6:7]
	v_mul_f64 v[11:12], v[2:3], -v[4:5]
	s_delay_alu instid0(VALU_DEP_2) | instskip(NEXT) | instid1(VALU_DEP_2)
	v_fma_f64 v[4:5], v[4:5], v[0:1], v[9:10]
	v_fma_f64 v[6:7], v[6:7], v[0:1], v[11:12]
	v_ashrrev_i32_e32 v9, 31, v8
	s_delay_alu instid0(VALU_DEP_1) | instskip(NEXT) | instid1(VALU_DEP_1)
	v_lshlrev_b64 v[8:9], 4, v[8:9]
	v_add_co_u32 v8, vcc_lo, s8, v8
	s_delay_alu instid0(VALU_DEP_2)
	v_add_co_ci_u32_e32 v9, vcc_lo, s9, v9, vcc_lo
	v_mul_f64 v[4:5], v[29:30], v[4:5]
	v_mul_f64 v[6:7], v[29:30], v[6:7]
	global_store_b128 v[8:9], v[4:7], off
	s_and_saveexec_b32 s41, s4
	s_cbranch_execz .LBB26_25
; %bb.33:                               ;   in Loop: Header=BB26_26 Depth=3
	v_mov_b32_e32 v45, v41
	s_mov_b32 s42, 0
	s_branch .LBB26_36
.LBB26_34:                              ;   in Loop: Header=BB26_36 Depth=4
	v_mov_b32_e32 v31, v47
.LBB26_35:                              ;   in Loop: Header=BB26_36 Depth=4
	s_waitcnt vmcnt(0)
	v_fma_f64 v[12:13], -v[4:5], v[8:9], v[12:13]
	v_fma_f64 v[14:15], -v[6:7], v[8:9], v[14:15]
	s_delay_alu instid0(VALU_DEP_3) | instskip(SKIP_1) | instid1(VALU_DEP_1)
	v_ashrrev_i32_e32 v32, 31, v31
	v_add_nc_u32_e32 v45, 1, v45
	v_cmp_le_i32_e32 vcc_lo, s14, v45
	s_or_b32 s42, vcc_lo, s42
	v_fma_f64 v[8:9], v[6:7], v[10:11], v[12:13]
	v_fma_f64 v[10:11], -v[4:5], v[10:11], v[14:15]
	v_lshlrev_b64 v[12:13], 4, v[31:32]
	s_delay_alu instid0(VALU_DEP_1) | instskip(NEXT) | instid1(VALU_DEP_1)
	v_add_co_u32 v12, s5, s8, v12
	v_add_co_ci_u32_e64 v13, s5, s9, v13, s5
	global_store_b128 v[12:13], v[8:11], off
	s_and_not1_b32 exec_lo, exec_lo, s42
	s_cbranch_execz .LBB26_25
.LBB26_36:                              ;   Parent Loop BB26_13 Depth=1
                                        ;     Parent Loop BB26_21 Depth=2
                                        ;       Parent Loop BB26_26 Depth=3
                                        ; =>      This Inner Loop Header: Depth=4
	s_and_b32 vcc_lo, exec_lo, s26
	s_cbranch_vccz .LBB26_44
; %bb.37:                               ;   in Loop: Header=BB26_36 Depth=4
	v_add_nc_u32_e32 v10, v45, v40
	s_delay_alu instid0(VALU_DEP_1)
	v_mad_u64_u32 v[8:9], null, v10, s14, v[21:22]
	s_cbranch_execnz .LBB26_39
.LBB26_38:                              ;   in Loop: Header=BB26_36 Depth=4
	v_add_nc_u32_e32 v8, v42, v45
.LBB26_39:                              ;   in Loop: Header=BB26_36 Depth=4
	s_delay_alu instid0(VALU_DEP_1) | instskip(SKIP_1) | instid1(VALU_DEP_2)
	v_ashrrev_i32_e32 v9, 31, v8
	v_add_nc_u32_e32 v46, v45, v37
	v_lshlrev_b64 v[8:9], 4, v[8:9]
	s_delay_alu instid0(VALU_DEP_1) | instskip(NEXT) | instid1(VALU_DEP_2)
	v_add_co_u32 v8, vcc_lo, s8, v8
	v_add_co_ci_u32_e32 v9, vcc_lo, s9, v9, vcc_lo
	s_and_b32 vcc_lo, exec_lo, s26
	global_load_b128 v[8:11], v[8:9], off
	s_cbranch_vccz .LBB26_45
; %bb.40:                               ;   in Loop: Header=BB26_36 Depth=4
	v_mad_u64_u32 v[12:13], null, v46, s14, v[25:26]
	v_add_nc_u32_e32 v47, v44, v45
	s_cbranch_execnz .LBB26_42
.LBB26_41:                              ;   in Loop: Header=BB26_36 Depth=4
	v_add_nc_u32_e32 v12, v44, v45
.LBB26_42:                              ;   in Loop: Header=BB26_36 Depth=4
	s_delay_alu instid0(VALU_DEP_1) | instskip(NEXT) | instid1(VALU_DEP_1)
	v_ashrrev_i32_e32 v13, 31, v12
	v_lshlrev_b64 v[12:13], 4, v[12:13]
	s_delay_alu instid0(VALU_DEP_1) | instskip(NEXT) | instid1(VALU_DEP_2)
	v_add_co_u32 v12, vcc_lo, s8, v12
	v_add_co_ci_u32_e32 v13, vcc_lo, s9, v13, vcc_lo
	s_and_b32 vcc_lo, exec_lo, s26
	global_load_b128 v[12:15], v[12:13], off
	s_cbranch_vccz .LBB26_46
; %bb.43:                               ;   in Loop: Header=BB26_36 Depth=4
	v_mad_u64_u32 v[31:32], null, v46, s14, v[25:26]
	s_cbranch_execnz .LBB26_35
	s_branch .LBB26_34
.LBB26_44:                              ;   in Loop: Header=BB26_36 Depth=4
                                        ; implicit-def: $vgpr8
	s_branch .LBB26_38
.LBB26_45:                              ;   in Loop: Header=BB26_36 Depth=4
                                        ; implicit-def: $vgpr12
	v_add_nc_u32_e32 v47, v44, v45
	s_branch .LBB26_41
.LBB26_46:                              ;   in Loop: Header=BB26_36 Depth=4
                                        ; implicit-def: $vgpr31
	s_branch .LBB26_34
.LBB26_47:                              ;   in Loop: Header=BB26_26 Depth=3
                                        ; implicit-def: $vgpr4
	v_add_nc_u32_e32 v10, v25, v37
	s_branch .LBB26_28
.LBB26_48:                              ;   in Loop: Header=BB26_26 Depth=3
                                        ; implicit-def: $vgpr8
	s_branch .LBB26_31
.LBB26_49:                              ;   in Loop: Header=BB26_13 Depth=1
	s_or_b32 exec_lo, exec_lo, s38
.LBB26_50:                              ;   in Loop: Header=BB26_13 Depth=1
	v_subrev_nc_u32_e32 v12, s24, v39
	v_add_nc_u32_e32 v4, 1, v38
	s_mov_b32 s4, exec_lo
	s_delay_alu instid0(VALU_DEP_1)
	v_cmpx_lt_i32_e64 v4, v12
	s_cbranch_execz .LBB26_11
; %bb.51:                               ;   in Loop: Header=BB26_13 Depth=1
	v_mul_lo_u32 v13, s31, v4
	s_mov_b32 s5, 0
	s_branch .LBB26_54
.LBB26_52:                              ;   in Loop: Header=BB26_54 Depth=2
	s_or_b32 exec_lo, exec_lo, s38
.LBB26_53:                              ;   in Loop: Header=BB26_54 Depth=2
	v_add_nc_u32_e32 v4, 1, v4
	v_add_nc_u32_e32 v13, s31, v13
	s_delay_alu instid0(VALU_DEP_2) | instskip(SKIP_1) | instid1(SALU_CYCLE_1)
	v_cmp_ge_i32_e32 vcc_lo, v4, v12
	s_or_b32 s5, vcc_lo, s5
	s_and_not1_b32 exec_lo, exec_lo, s5
	s_cbranch_execz .LBB26_11
.LBB26_54:                              ;   Parent Loop BB26_13 Depth=1
                                        ; =>  This Loop Header: Depth=2
                                        ;       Child Loop BB26_59 Depth 3
                                        ;       Child Loop BB26_66 Depth 3
                                        ;         Child Loop BB26_69 Depth 4
                                        ;           Child Loop BB26_71 Depth 5
	v_ashrrev_i32_e32 v5, 31, v4
	s_waitcnt lgkmcnt(0)
	s_delay_alu instid0(VALU_DEP_1) | instskip(NEXT) | instid1(VALU_DEP_1)
	v_lshlrev_b64 v[0:1], 2, v[4:5]
	v_add_co_u32 v0, vcc_lo, s6, v0
	s_delay_alu instid0(VALU_DEP_2)
	v_add_co_ci_u32_e32 v1, vcc_lo, s7, v1, vcc_lo
	global_load_b32 v0, v[0:1], off
	v_mov_b32_e32 v1, s21
	s_and_saveexec_b32 s38, s2
	s_cbranch_execz .LBB26_56
; %bb.55:                               ;   in Loop: Header=BB26_54 Depth=2
	global_load_b32 v1, v[27:28], off
	s_waitcnt vmcnt(0)
	v_subrev_nc_u32_e32 v1, s24, v1
.LBB26_56:                              ;   in Loop: Header=BB26_54 Depth=2
	s_or_b32 exec_lo, exec_lo, s38
	s_waitcnt vmcnt(0)
	v_subrev_nc_u32_e32 v2, s24, v0
	v_mov_b32_e32 v3, v26
	s_mov_b32 s38, exec_lo
	s_delay_alu instid0(VALU_DEP_2)
	v_cmpx_lt_i32_e64 v1, v2
	s_cbranch_execz .LBB26_62
; %bb.57:                               ;   in Loop: Header=BB26_54 Depth=2
	v_mov_b32_e32 v0, v26
	s_mov_b32 s39, 0
	s_branch .LBB26_59
	.p2align	6
.LBB26_58:                              ;   in Loop: Header=BB26_59 Depth=3
	s_or_b32 exec_lo, exec_lo, s40
	s_delay_alu instid0(VALU_DEP_1) | instskip(SKIP_2) | instid1(SALU_CYCLE_1)
	v_cmp_ge_i32_e32 vcc_lo, v1, v2
	v_mov_b32_e32 v0, v3
	s_or_b32 s39, vcc_lo, s39
	s_and_not1_b32 exec_lo, exec_lo, s39
	s_cbranch_execz .LBB26_61
.LBB26_59:                              ;   Parent Loop BB26_13 Depth=1
                                        ;     Parent Loop BB26_54 Depth=2
                                        ; =>    This Inner Loop Header: Depth=3
	s_delay_alu instid0(VALU_DEP_1) | instskip(SKIP_2) | instid1(VALU_DEP_2)
	v_add_nc_u32_e32 v3, 64, v0
	v_mov_b32_e32 v1, s21
	s_mov_b32 s40, exec_lo
	v_cmpx_lt_i32_e64 v3, v33
	s_cbranch_execz .LBB26_58
; %bb.60:                               ;   in Loop: Header=BB26_59 Depth=3
	v_ashrrev_i32_e32 v1, 31, v0
	s_delay_alu instid0(VALU_DEP_1) | instskip(NEXT) | instid1(VALU_DEP_1)
	v_lshlrev_b64 v[0:1], 2, v[0:1]
	v_add_co_u32 v0, vcc_lo, s29, v0
	s_delay_alu instid0(VALU_DEP_2)
	v_add_co_ci_u32_e32 v1, vcc_lo, s30, v1, vcc_lo
	global_load_b32 v0, v[0:1], off
	s_waitcnt vmcnt(0)
	v_subrev_nc_u32_e32 v1, s24, v0
	s_branch .LBB26_58
.LBB26_61:                              ;   in Loop: Header=BB26_54 Depth=2
	s_or_b32 exec_lo, exec_lo, s39
.LBB26_62:                              ;   in Loop: Header=BB26_54 Depth=2
	s_delay_alu instid0(SALU_CYCLE_1)
	s_or_b32 exec_lo, exec_lo, s38
	v_cmp_eq_u32_e32 vcc_lo, v1, v2
	s_cbranch_vccz .LBB26_53
; %bb.63:                               ;   in Loop: Header=BB26_54 Depth=2
	s_ctz_i32_b32 s38, vcc_lo
	s_delay_alu instid0(SALU_CYCLE_1) | instskip(NEXT) | instid1(SALU_CYCLE_1)
	s_lshl_b32 s38, s38, 2
	v_mov_b32_e32 v0, s38
	ds_bpermute_b32 v0, v0, v3
	s_and_saveexec_b32 s38, s0
	s_cbranch_execz .LBB26_52
; %bb.64:                               ;   in Loop: Header=BB26_54 Depth=2
	v_mul_lo_u32 v14, v4, s14
	s_waitcnt lgkmcnt(0)
	v_mul_lo_u32 v15, v0, s14
	v_mov_b32_e32 v21, v36
	v_mov_b32_e32 v5, v19
	s_mov_b32 s39, 0
	s_branch .LBB26_66
.LBB26_65:                              ;   in Loop: Header=BB26_66 Depth=3
	v_add_nc_u32_e32 v5, 64, v5
	v_add_nc_u32_e32 v21, s33, v21
	s_delay_alu instid0(VALU_DEP_2) | instskip(SKIP_1) | instid1(SALU_CYCLE_1)
	v_cmp_le_i32_e32 vcc_lo, s14, v5
	s_or_b32 s39, vcc_lo, s39
	s_and_not1_b32 exec_lo, exec_lo, s39
	s_cbranch_execz .LBB26_52
.LBB26_66:                              ;   Parent Loop BB26_13 Depth=1
                                        ;     Parent Loop BB26_54 Depth=2
                                        ; =>    This Loop Header: Depth=3
                                        ;         Child Loop BB26_69 Depth 4
                                        ;           Child Loop BB26_71 Depth 5
	s_delay_alu instid0(VALU_DEP_1) | instskip(SKIP_2) | instid1(VALU_DEP_2)
	v_add_nc_u32_e32 v0, v5, v15
	v_mov_b32_e32 v29, v13
	s_mov_b32 s40, 0
	v_mul_lo_u32 v25, v0, s14
	s_branch .LBB26_69
.LBB26_67:                              ;   in Loop: Header=BB26_69 Depth=4
	v_add_nc_u32_e32 v0, s40, v25
.LBB26_68:                              ;   in Loop: Header=BB26_69 Depth=4
	s_delay_alu instid0(VALU_DEP_1) | instskip(SKIP_2) | instid1(SALU_CYCLE_1)
	v_ashrrev_i32_e32 v1, 31, v0
	v_add_nc_u32_e32 v29, 1, v29
	s_add_i32 s40, s40, 1
	s_cmp_eq_u32 s40, s14
	s_delay_alu instid0(VALU_DEP_2) | instskip(NEXT) | instid1(VALU_DEP_1)
	v_lshlrev_b64 v[0:1], 4, v[0:1]
	v_add_co_u32 v10, vcc_lo, s8, v0
	s_delay_alu instid0(VALU_DEP_2)
	v_add_co_ci_u32_e32 v11, vcc_lo, s9, v1, vcc_lo
	global_load_b128 v[0:3], v[10:11], off
	s_waitcnt vmcnt(0)
	v_add_f64 v[0:1], v[0:1], -v[6:7]
	v_add_f64 v[2:3], v[2:3], -v[8:9]
	global_store_b128 v[10:11], v[0:3], off
	s_cbranch_scc1 .LBB26_65
.LBB26_69:                              ;   Parent Loop BB26_13 Depth=1
                                        ;     Parent Loop BB26_54 Depth=2
                                        ;       Parent Loop BB26_66 Depth=3
                                        ; =>      This Loop Header: Depth=4
                                        ;           Child Loop BB26_71 Depth 5
	v_add_nc_u32_e32 v0, s40, v14
	v_dual_mov_b32 v6, 0 :: v_dual_mov_b32 v31, v29
	v_mov_b32_e32 v7, 0
	s_mov_b32 s41, 0
	s_delay_alu instid0(VALU_DEP_3) | instskip(NEXT) | instid1(VALU_DEP_2)
	v_mul_lo_u32 v30, v0, s14
	v_dual_mov_b32 v9, v7 :: v_dual_mov_b32 v8, v6
	s_set_inst_prefetch_distance 0x1
	s_branch .LBB26_71
	.p2align	6
.LBB26_70:                              ;   in Loop: Header=BB26_71 Depth=5
	s_delay_alu instid0(VALU_DEP_1) | instskip(SKIP_2) | instid1(SALU_CYCLE_1)
	v_ashrrev_i32_e32 v11, 31, v10
	v_add_nc_u32_e32 v31, s14, v31
	s_add_i32 s41, s41, 1
	s_cmp_eq_u32 s14, s41
	s_delay_alu instid0(VALU_DEP_2) | instskip(NEXT) | instid1(VALU_DEP_1)
	v_lshlrev_b64 v[10:11], 4, v[10:11]
	v_add_co_u32 v10, vcc_lo, s8, v10
	s_delay_alu instid0(VALU_DEP_2) | instskip(SKIP_4) | instid1(VALU_DEP_2)
	v_add_co_ci_u32_e32 v11, vcc_lo, s9, v11, vcc_lo
	global_load_b128 v[38:41], v[10:11], off
	s_waitcnt vmcnt(0)
	v_fma_f64 v[6:7], v[0:1], v[38:39], v[6:7]
	v_fma_f64 v[8:9], v[2:3], v[38:39], v[8:9]
	v_fma_f64 v[6:7], -v[2:3], v[40:41], v[6:7]
	s_delay_alu instid0(VALU_DEP_2)
	v_fma_f64 v[8:9], v[0:1], v[40:41], v[8:9]
	s_cbranch_scc1 .LBB26_77
.LBB26_71:                              ;   Parent Loop BB26_13 Depth=1
                                        ;     Parent Loop BB26_54 Depth=2
                                        ;       Parent Loop BB26_66 Depth=3
                                        ;         Parent Loop BB26_69 Depth=4
                                        ; =>        This Inner Loop Header: Depth=5
	s_and_b32 vcc_lo, exec_lo, s26
	s_cbranch_vccz .LBB26_76
; %bb.72:                               ;   in Loop: Header=BB26_71 Depth=5
	v_add_nc_u32_e32 v2, s41, v37
	s_delay_alu instid0(VALU_DEP_1)
	v_mad_u64_u32 v[0:1], null, v2, s14, v[5:6]
	s_cbranch_execnz .LBB26_74
.LBB26_73:                              ;   in Loop: Header=BB26_71 Depth=5
	v_add_nc_u32_e32 v0, s41, v21
.LBB26_74:                              ;   in Loop: Header=BB26_71 Depth=5
	s_delay_alu instid0(VALU_DEP_1) | instskip(SKIP_1) | instid1(VALU_DEP_2)
	v_ashrrev_i32_e32 v1, 31, v0
	v_mov_b32_e32 v10, v31
	v_lshlrev_b64 v[0:1], 4, v[0:1]
	s_delay_alu instid0(VALU_DEP_1) | instskip(NEXT) | instid1(VALU_DEP_2)
	v_add_co_u32 v0, vcc_lo, s8, v0
	v_add_co_ci_u32_e32 v1, vcc_lo, s9, v1, vcc_lo
	s_and_not1_b32 vcc_lo, exec_lo, s26
	global_load_b128 v[0:3], v[0:1], off
	s_cbranch_vccnz .LBB26_70
; %bb.75:                               ;   in Loop: Header=BB26_71 Depth=5
	v_add_nc_u32_e32 v10, s41, v30
	s_branch .LBB26_70
.LBB26_76:                              ;   in Loop: Header=BB26_71 Depth=5
                                        ; implicit-def: $vgpr0
	s_branch .LBB26_73
.LBB26_77:                              ;   in Loop: Header=BB26_69 Depth=4
	s_set_inst_prefetch_distance 0x2
	s_and_b32 vcc_lo, exec_lo, s26
	s_cbranch_vccz .LBB26_79
; %bb.78:                               ;   in Loop: Header=BB26_69 Depth=4
	v_add_nc_u32_e32 v2, s40, v15
	s_delay_alu instid0(VALU_DEP_1)
	v_mad_u64_u32 v[0:1], null, v2, s14, v[5:6]
	s_cbranch_execnz .LBB26_68
	s_branch .LBB26_67
.LBB26_79:                              ;   in Loop: Header=BB26_69 Depth=4
                                        ; implicit-def: $vgpr0
	s_branch .LBB26_67
.LBB26_80:
	s_or_b32 exec_lo, exec_lo, s34
	s_delay_alu instid0(SALU_CYCLE_1)
	s_and_b32 s3, s35, exec_lo
.LBB26_81:
	s_or_b32 exec_lo, exec_lo, s22
	v_ashrrev_i32_e32 v21, 31, v20
	s_waitcnt lgkmcnt(0)
	s_cmp_gt_i32 s14, 0
	s_cselect_b32 s4, -1, 0
	s_delay_alu instid0(VALU_DEP_1) | instskip(NEXT) | instid1(VALU_DEP_1)
	v_lshlrev_b64 v[0:1], 2, v[20:21]
	v_add_co_u32 v0, vcc_lo, s6, v0
	s_delay_alu instid0(VALU_DEP_2) | instskip(SKIP_4) | instid1(VALU_DEP_1)
	v_add_co_ci_u32_e32 v1, vcc_lo, s7, v1, vcc_lo
	s_mov_b32 s6, 0
	global_load_b32 v0, v[0:1], off
	s_waitcnt vmcnt(0)
	v_subrev_nc_u32_e32 v0, s24, v0
	v_cmp_eq_u32_e32 vcc_lo, v0, v16
	s_and_b32 s0, s4, vcc_lo
	s_delay_alu instid0(SALU_CYCLE_1)
	s_and_saveexec_b32 s5, s0
	s_cbranch_execz .LBB26_127
; %bb.82:
	v_cvt_f64_f32_e32 v[0:1], v35
	v_mul_lo_u32 v29, v20, s14
	s_cmp_eq_u64 s[16:17], 8
	v_cmp_eq_u32_e64 s0, 0, v19
	s_cselect_b32 vcc_lo, -1, 0
	v_mov_b32_e32 v21, 0
	v_mov_b32_e32 v31, 16
	s_cmp_lg_u32 s20, 0
	s_mov_b32 s16, s3
	v_add3_u32 v30, v29, v19, 1
	s_cselect_b32 s7, -1, 0
	s_lshl_b32 s10, s14, 6
                                        ; implicit-def: $sgpr11
	v_dual_cndmask_b32 v22, v0, v22 :: v_dual_cndmask_b32 v23, v1, v23
	s_branch .LBB26_84
.LBB26_83:                              ;   in Loop: Header=BB26_84 Depth=1
	s_or_b32 exec_lo, exec_lo, s1
	s_delay_alu instid0(VALU_DEP_1) | instskip(SKIP_4) | instid1(SALU_CYCLE_1)
	v_cmp_eq_u32_e32 vcc_lo, s14, v35
	v_mov_b32_e32 v21, v35
	s_or_b32 s6, vcc_lo, s6
	s_and_not1_b32 s1, s11, exec_lo
	s_and_b32 s2, s16, exec_lo
	s_or_b32 s11, s1, s2
	s_and_not1_b32 exec_lo, exec_lo, s6
	s_cbranch_execz .LBB26_126
.LBB26_84:                              ; =>This Loop Header: Depth=1
                                        ;     Child Loop BB26_100 Depth 2
                                        ;       Child Loop BB26_110 Depth 3
	v_add_nc_u32_e32 v0, v21, v29
	s_mov_b32 s1, -1
	s_mov_b32 s17, 0
	s_mov_b32 s2, 0
	s_delay_alu instid0(VALU_DEP_1) | instskip(NEXT) | instid1(VALU_DEP_1)
	v_mul_lo_u32 v32, v0, s14
	v_add_nc_u32_e32 v0, v32, v21
	s_delay_alu instid0(VALU_DEP_1) | instskip(NEXT) | instid1(VALU_DEP_1)
	v_ashrrev_i32_e32 v1, 31, v0
	v_lshlrev_b64 v[0:1], 4, v[0:1]
	s_delay_alu instid0(VALU_DEP_1) | instskip(NEXT) | instid1(VALU_DEP_2)
	v_add_co_u32 v4, vcc_lo, s8, v0
	v_add_co_ci_u32_e32 v5, vcc_lo, s9, v1, vcc_lo
	v_cmp_ne_u32_e32 vcc_lo, 1, v34
	global_load_b128 v[0:3], v[4:5], off
	s_waitcnt vmcnt(0)
	scratch_store_b128 off, v[0:3], off offset:16
	s_cbranch_vccnz .LBB26_94
; %bb.85:                               ;   in Loop: Header=BB26_84 Depth=1
	v_cmp_gt_f64_e32 vcc_lo, 0, v[0:1]
	v_cmp_gt_f64_e64 s1, 0, v[2:3]
	v_xor_b32_e32 v6, 0x80000000, v1
	v_xor_b32_e32 v8, 0x80000000, v3
                                        ; implicit-def: $vgpr10_vgpr11
	s_delay_alu instid0(VALU_DEP_2) | instskip(NEXT) | instid1(VALU_DEP_2)
	v_dual_cndmask_b32 v7, v1, v6 :: v_dual_cndmask_b32 v6, v0, v0
	v_cndmask_b32_e64 v9, v3, v8, s1
	v_cndmask_b32_e64 v8, v2, v2, s1
	s_mov_b32 s1, exec_lo
	s_delay_alu instid0(VALU_DEP_1)
	v_cmpx_ngt_f64_e32 v[6:7], v[8:9]
	s_xor_b32 s1, exec_lo, s1
	s_cbranch_execz .LBB26_89
; %bb.86:                               ;   in Loop: Header=BB26_84 Depth=1
	v_mov_b32_e32 v10, 0
	v_mov_b32_e32 v11, 0
	s_mov_b32 s2, exec_lo
	v_cmpx_neq_f64_e32 0, v[2:3]
	s_cbranch_execz .LBB26_88
; %bb.87:                               ;   in Loop: Header=BB26_84 Depth=1
	v_div_scale_f64 v[10:11], null, v[8:9], v[8:9], v[6:7]
	v_div_scale_f64 v[24:25], vcc_lo, v[6:7], v[8:9], v[6:7]
	s_delay_alu instid0(VALU_DEP_2) | instskip(SKIP_2) | instid1(VALU_DEP_1)
	v_rcp_f64_e32 v[12:13], v[10:11]
	s_waitcnt_depctr 0xfff
	v_fma_f64 v[14:15], -v[10:11], v[12:13], 1.0
	v_fma_f64 v[12:13], v[12:13], v[14:15], v[12:13]
	s_delay_alu instid0(VALU_DEP_1) | instskip(NEXT) | instid1(VALU_DEP_1)
	v_fma_f64 v[14:15], -v[10:11], v[12:13], 1.0
	v_fma_f64 v[12:13], v[12:13], v[14:15], v[12:13]
	s_delay_alu instid0(VALU_DEP_1) | instskip(NEXT) | instid1(VALU_DEP_1)
	v_mul_f64 v[14:15], v[24:25], v[12:13]
	v_fma_f64 v[10:11], -v[10:11], v[14:15], v[24:25]
	s_delay_alu instid0(VALU_DEP_1) | instskip(NEXT) | instid1(VALU_DEP_1)
	v_div_fmas_f64 v[10:11], v[10:11], v[12:13], v[14:15]
	v_div_fixup_f64 v[6:7], v[10:11], v[8:9], v[6:7]
	s_delay_alu instid0(VALU_DEP_1) | instskip(NEXT) | instid1(VALU_DEP_1)
	v_fma_f64 v[6:7], v[6:7], v[6:7], 1.0
	v_cmp_gt_f64_e32 vcc_lo, 0x10000000, v[6:7]
	v_cndmask_b32_e64 v10, 0, 1, vcc_lo
	s_delay_alu instid0(VALU_DEP_1) | instskip(NEXT) | instid1(VALU_DEP_1)
	v_lshlrev_b32_e32 v10, 8, v10
	v_ldexp_f64 v[6:7], v[6:7], v10
	s_delay_alu instid0(VALU_DEP_1) | instskip(SKIP_3) | instid1(VALU_DEP_1)
	v_rsq_f64_e32 v[10:11], v[6:7]
	s_waitcnt_depctr 0xfff
	v_mul_f64 v[12:13], v[6:7], v[10:11]
	v_mul_f64 v[10:11], v[10:11], 0.5
	v_fma_f64 v[14:15], -v[10:11], v[12:13], 0.5
	s_delay_alu instid0(VALU_DEP_1) | instskip(SKIP_1) | instid1(VALU_DEP_2)
	v_fma_f64 v[12:13], v[12:13], v[14:15], v[12:13]
	v_fma_f64 v[10:11], v[10:11], v[14:15], v[10:11]
	v_fma_f64 v[14:15], -v[12:13], v[12:13], v[6:7]
	s_delay_alu instid0(VALU_DEP_1) | instskip(NEXT) | instid1(VALU_DEP_1)
	v_fma_f64 v[12:13], v[14:15], v[10:11], v[12:13]
	v_fma_f64 v[14:15], -v[12:13], v[12:13], v[6:7]
	s_delay_alu instid0(VALU_DEP_1) | instskip(SKIP_2) | instid1(VALU_DEP_2)
	v_fma_f64 v[10:11], v[14:15], v[10:11], v[12:13]
	v_cndmask_b32_e64 v12, 0, 0xffffff80, vcc_lo
	v_cmp_class_f64_e64 vcc_lo, v[6:7], 0x260
	v_ldexp_f64 v[10:11], v[10:11], v12
	s_delay_alu instid0(VALU_DEP_1) | instskip(NEXT) | instid1(VALU_DEP_1)
	v_dual_cndmask_b32 v7, v11, v7 :: v_dual_cndmask_b32 v6, v10, v6
	v_mul_f64 v[10:11], v[8:9], v[6:7]
.LBB26_88:                              ;   in Loop: Header=BB26_84 Depth=1
	s_or_b32 exec_lo, exec_lo, s2
                                        ; implicit-def: $vgpr6_vgpr7
                                        ; implicit-def: $vgpr8_vgpr9
.LBB26_89:                              ;   in Loop: Header=BB26_84 Depth=1
	s_and_not1_saveexec_b32 s1, s1
	s_cbranch_execz .LBB26_91
; %bb.90:                               ;   in Loop: Header=BB26_84 Depth=1
	v_div_scale_f64 v[10:11], null, v[6:7], v[6:7], v[8:9]
	v_div_scale_f64 v[24:25], vcc_lo, v[8:9], v[6:7], v[8:9]
	s_delay_alu instid0(VALU_DEP_2) | instskip(SKIP_2) | instid1(VALU_DEP_1)
	v_rcp_f64_e32 v[12:13], v[10:11]
	s_waitcnt_depctr 0xfff
	v_fma_f64 v[14:15], -v[10:11], v[12:13], 1.0
	v_fma_f64 v[12:13], v[12:13], v[14:15], v[12:13]
	s_delay_alu instid0(VALU_DEP_1) | instskip(NEXT) | instid1(VALU_DEP_1)
	v_fma_f64 v[14:15], -v[10:11], v[12:13], 1.0
	v_fma_f64 v[12:13], v[12:13], v[14:15], v[12:13]
	s_delay_alu instid0(VALU_DEP_1) | instskip(NEXT) | instid1(VALU_DEP_1)
	v_mul_f64 v[14:15], v[24:25], v[12:13]
	v_fma_f64 v[10:11], -v[10:11], v[14:15], v[24:25]
	s_delay_alu instid0(VALU_DEP_1) | instskip(NEXT) | instid1(VALU_DEP_1)
	v_div_fmas_f64 v[10:11], v[10:11], v[12:13], v[14:15]
	v_div_fixup_f64 v[8:9], v[10:11], v[6:7], v[8:9]
	s_delay_alu instid0(VALU_DEP_1) | instskip(NEXT) | instid1(VALU_DEP_1)
	v_fma_f64 v[8:9], v[8:9], v[8:9], 1.0
	v_cmp_gt_f64_e32 vcc_lo, 0x10000000, v[8:9]
	v_cndmask_b32_e64 v10, 0, 1, vcc_lo
	s_delay_alu instid0(VALU_DEP_1) | instskip(NEXT) | instid1(VALU_DEP_1)
	v_lshlrev_b32_e32 v10, 8, v10
	v_ldexp_f64 v[8:9], v[8:9], v10
	s_delay_alu instid0(VALU_DEP_1) | instskip(SKIP_3) | instid1(VALU_DEP_1)
	v_rsq_f64_e32 v[10:11], v[8:9]
	s_waitcnt_depctr 0xfff
	v_mul_f64 v[12:13], v[8:9], v[10:11]
	v_mul_f64 v[10:11], v[10:11], 0.5
	v_fma_f64 v[14:15], -v[10:11], v[12:13], 0.5
	s_delay_alu instid0(VALU_DEP_1) | instskip(SKIP_1) | instid1(VALU_DEP_2)
	v_fma_f64 v[12:13], v[12:13], v[14:15], v[12:13]
	v_fma_f64 v[10:11], v[10:11], v[14:15], v[10:11]
	v_fma_f64 v[14:15], -v[12:13], v[12:13], v[8:9]
	s_delay_alu instid0(VALU_DEP_1) | instskip(NEXT) | instid1(VALU_DEP_1)
	v_fma_f64 v[12:13], v[14:15], v[10:11], v[12:13]
	v_fma_f64 v[14:15], -v[12:13], v[12:13], v[8:9]
	s_delay_alu instid0(VALU_DEP_1) | instskip(SKIP_2) | instid1(VALU_DEP_2)
	v_fma_f64 v[10:11], v[14:15], v[10:11], v[12:13]
	v_cndmask_b32_e64 v12, 0, 0xffffff80, vcc_lo
	v_cmp_class_f64_e64 vcc_lo, v[8:9], 0x260
	v_ldexp_f64 v[10:11], v[10:11], v12
	s_delay_alu instid0(VALU_DEP_1) | instskip(NEXT) | instid1(VALU_DEP_1)
	v_dual_cndmask_b32 v9, v11, v9 :: v_dual_cndmask_b32 v8, v10, v8
	v_mul_f64 v[10:11], v[6:7], v[8:9]
.LBB26_91:                              ;   in Loop: Header=BB26_84 Depth=1
	s_or_b32 exec_lo, exec_lo, s1
	s_delay_alu instid0(VALU_DEP_1)
	v_cmp_le_f64_e32 vcc_lo, v[10:11], v[22:23]
	v_cndmask_b32_e64 v6, v31, 0, vcc_lo
	scratch_load_b128 v[7:10], v6, off
	s_waitcnt vmcnt(0)
	scratch_store_b128 off, v[7:10], off offset:16
	s_and_saveexec_b32 s1, s0
	s_cbranch_execz .LBB26_93
; %bb.92:                               ;   in Loop: Header=BB26_84 Depth=1
	scratch_load_b128 v[6:9], v6, off
	s_waitcnt vmcnt(0)
	global_store_b128 v[4:5], v[6:9], off
.LBB26_93:                              ;   in Loop: Header=BB26_84 Depth=1
	s_or_b32 exec_lo, exec_lo, s1
	s_mov_b32 s2, -1
	s_branch .LBB26_96
.LBB26_94:                              ;   in Loop: Header=BB26_84 Depth=1
	s_and_b32 vcc_lo, exec_lo, s1
	s_cbranch_vccz .LBB26_96
; %bb.95:                               ;   in Loop: Header=BB26_84 Depth=1
	v_cmp_neq_f64_e32 vcc_lo, 0, v[0:1]
	v_cmp_neq_f64_e64 s1, 0, v[2:3]
	s_and_not1_b32 s2, s2, exec_lo
	s_mov_b32 s17, -1
	s_delay_alu instid0(VALU_DEP_1) | instskip(NEXT) | instid1(SALU_CYCLE_1)
	s_or_b32 s1, vcc_lo, s1
	s_and_b32 s1, s1, exec_lo
	s_delay_alu instid0(SALU_CYCLE_1)
	s_or_b32 s2, s2, s1
.LBB26_96:                              ;   in Loop: Header=BB26_84 Depth=1
                                        ; implicit-def: $sgpr1
                                        ; implicit-def: $vgpr35
	s_delay_alu instid0(SALU_CYCLE_1) | instskip(NEXT) | instid1(SALU_CYCLE_1)
	s_and_saveexec_b32 s21, s2
	s_xor_b32 s21, exec_lo, s21
	s_cbranch_execz .LBB26_124
; %bb.97:                               ;   in Loop: Header=BB26_84 Depth=1
	v_add_nc_u32_e32 v35, 1, v21
	s_mov_b32 s22, exec_lo
	s_delay_alu instid0(VALU_DEP_1) | instskip(NEXT) | instid1(VALU_DEP_1)
	v_add_nc_u32_e32 v24, v35, v19
	v_cmpx_gt_i32_e64 s14, v24
	s_cbranch_execz .LBB26_123
; %bb.98:                               ;   in Loop: Header=BB26_84 Depth=1
	scratch_load_b128 v[0:3], off, off offset:16
	v_cmp_gt_i32_e64 s1, s14, v35
	s_mov_b32 s23, 0
	s_waitcnt vmcnt(0)
	v_mul_f64 v[4:5], v[2:3], v[2:3]
	s_delay_alu instid0(VALU_DEP_1) | instskip(NEXT) | instid1(VALU_DEP_1)
	v_fma_f64 v[4:5], v[0:1], v[0:1], v[4:5]
	v_div_scale_f64 v[6:7], null, v[4:5], v[4:5], 1.0
	s_delay_alu instid0(VALU_DEP_1) | instskip(SKIP_2) | instid1(VALU_DEP_1)
	v_rcp_f64_e32 v[8:9], v[6:7]
	s_waitcnt_depctr 0xfff
	v_fma_f64 v[10:11], -v[6:7], v[8:9], 1.0
	v_fma_f64 v[8:9], v[8:9], v[10:11], v[8:9]
	s_delay_alu instid0(VALU_DEP_1) | instskip(NEXT) | instid1(VALU_DEP_1)
	v_fma_f64 v[10:11], -v[6:7], v[8:9], 1.0
	v_fma_f64 v[8:9], v[8:9], v[10:11], v[8:9]
	v_div_scale_f64 v[10:11], vcc_lo, 1.0, v[4:5], 1.0
	s_delay_alu instid0(VALU_DEP_1) | instskip(NEXT) | instid1(VALU_DEP_1)
	v_mul_f64 v[12:13], v[10:11], v[8:9]
	v_fma_f64 v[6:7], -v[6:7], v[12:13], v[10:11]
	s_delay_alu instid0(VALU_DEP_1) | instskip(NEXT) | instid1(VALU_DEP_1)
	v_div_fmas_f64 v[6:7], v[6:7], v[8:9], v[12:13]
	v_div_fixup_f64 v[25:26], v[6:7], v[4:5], 1.0
	v_add_nc_u32_e32 v4, v30, v21
	s_delay_alu instid0(VALU_DEP_1)
	v_mul_lo_u32 v36, s14, v4
	s_branch .LBB26_100
.LBB26_99:                              ;   in Loop: Header=BB26_100 Depth=2
	s_or_b32 exec_lo, exec_lo, s25
	v_add_nc_u32_e32 v24, 64, v24
	v_add_nc_u32_e32 v36, s10, v36
	s_delay_alu instid0(VALU_DEP_2) | instskip(SKIP_1) | instid1(SALU_CYCLE_1)
	v_cmp_le_i32_e32 vcc_lo, s14, v24
	s_or_b32 s23, vcc_lo, s23
	s_and_not1_b32 exec_lo, exec_lo, s23
	s_cbranch_execz .LBB26_123
.LBB26_100:                             ;   Parent Loop BB26_84 Depth=1
                                        ; =>  This Loop Header: Depth=2
                                        ;       Child Loop BB26_110 Depth 3
	v_add_nc_u32_e32 v8, v24, v32
	s_and_b32 vcc_lo, exec_lo, s7
	s_cbranch_vccz .LBB26_121
; %bb.101:                              ;   in Loop: Header=BB26_100 Depth=2
	v_add_nc_u32_e32 v4, v24, v32
	s_cbranch_execnz .LBB26_103
.LBB26_102:                             ;   in Loop: Header=BB26_100 Depth=2
	v_add_nc_u32_e32 v6, v24, v29
	s_delay_alu instid0(VALU_DEP_1)
	v_mad_u64_u32 v[4:5], null, v6, s14, v[21:22]
.LBB26_103:                             ;   in Loop: Header=BB26_100 Depth=2
	s_delay_alu instid0(VALU_DEP_1) | instskip(NEXT) | instid1(VALU_DEP_1)
	v_ashrrev_i32_e32 v5, 31, v4
	v_lshlrev_b64 v[4:5], 4, v[4:5]
	s_delay_alu instid0(VALU_DEP_1) | instskip(NEXT) | instid1(VALU_DEP_2)
	v_add_co_u32 v4, vcc_lo, s8, v4
	v_add_co_ci_u32_e32 v5, vcc_lo, s9, v5, vcc_lo
	s_and_b32 vcc_lo, exec_lo, s7
	global_load_b128 v[4:7], v[4:5], off
	s_cbranch_vccz .LBB26_122
; %bb.104:                              ;   in Loop: Header=BB26_100 Depth=2
	s_cbranch_execnz .LBB26_106
.LBB26_105:                             ;   in Loop: Header=BB26_100 Depth=2
	v_add_nc_u32_e32 v10, v24, v29
	s_delay_alu instid0(VALU_DEP_1)
	v_mad_u64_u32 v[8:9], null, v10, s14, v[21:22]
.LBB26_106:                             ;   in Loop: Header=BB26_100 Depth=2
	s_waitcnt vmcnt(0)
	v_mul_f64 v[9:10], v[2:3], v[6:7]
	v_mul_f64 v[11:12], v[2:3], -v[4:5]
	s_delay_alu instid0(VALU_DEP_2) | instskip(NEXT) | instid1(VALU_DEP_2)
	v_fma_f64 v[4:5], v[4:5], v[0:1], v[9:10]
	v_fma_f64 v[6:7], v[6:7], v[0:1], v[11:12]
	v_ashrrev_i32_e32 v9, 31, v8
	s_delay_alu instid0(VALU_DEP_1) | instskip(NEXT) | instid1(VALU_DEP_1)
	v_lshlrev_b64 v[8:9], 4, v[8:9]
	v_add_co_u32 v8, vcc_lo, s8, v8
	s_delay_alu instid0(VALU_DEP_2)
	v_add_co_ci_u32_e32 v9, vcc_lo, s9, v9, vcc_lo
	v_mul_f64 v[4:5], v[25:26], v[4:5]
	v_mul_f64 v[6:7], v[25:26], v[6:7]
	global_store_b128 v[8:9], v[4:7], off
	s_and_saveexec_b32 s25, s1
	s_cbranch_execz .LBB26_99
; %bb.107:                              ;   in Loop: Header=BB26_100 Depth=2
	v_mov_b32_e32 v37, v35
	s_mov_b32 s26, 0
	s_branch .LBB26_110
.LBB26_108:                             ;   in Loop: Header=BB26_110 Depth=3
	v_add_nc_u32_e32 v27, v36, v37
.LBB26_109:                             ;   in Loop: Header=BB26_110 Depth=3
	s_waitcnt vmcnt(0)
	v_fma_f64 v[12:13], -v[4:5], v[8:9], v[12:13]
	v_fma_f64 v[14:15], -v[6:7], v[8:9], v[14:15]
	s_delay_alu instid0(VALU_DEP_3) | instskip(SKIP_1) | instid1(VALU_DEP_1)
	v_ashrrev_i32_e32 v28, 31, v27
	v_add_nc_u32_e32 v37, 1, v37
	v_cmp_le_i32_e32 vcc_lo, s14, v37
	s_or_b32 s26, vcc_lo, s26
	v_fma_f64 v[8:9], v[6:7], v[10:11], v[12:13]
	v_fma_f64 v[10:11], -v[4:5], v[10:11], v[14:15]
	v_lshlrev_b64 v[12:13], 4, v[27:28]
	s_delay_alu instid0(VALU_DEP_1) | instskip(NEXT) | instid1(VALU_DEP_1)
	v_add_co_u32 v12, s2, s8, v12
	v_add_co_ci_u32_e64 v13, s2, s9, v13, s2
	global_store_b128 v[12:13], v[8:11], off
	s_and_not1_b32 exec_lo, exec_lo, s26
	s_cbranch_execz .LBB26_99
.LBB26_110:                             ;   Parent Loop BB26_84 Depth=1
                                        ;     Parent Loop BB26_100 Depth=2
                                        ; =>    This Inner Loop Header: Depth=3
	s_delay_alu instid0(VALU_DEP_1)
	v_add_nc_u32_e32 v38, v37, v29
	s_and_b32 vcc_lo, exec_lo, s7
	s_cbranch_vccz .LBB26_118
; %bb.111:                              ;   in Loop: Header=BB26_110 Depth=3
	s_delay_alu instid0(VALU_DEP_1)
	v_mad_u64_u32 v[8:9], null, v38, s14, v[21:22]
	s_cbranch_execnz .LBB26_113
.LBB26_112:                             ;   in Loop: Header=BB26_110 Depth=3
	v_add_nc_u32_e32 v8, v32, v37
.LBB26_113:                             ;   in Loop: Header=BB26_110 Depth=3
	s_delay_alu instid0(VALU_DEP_1) | instskip(NEXT) | instid1(VALU_DEP_1)
	v_ashrrev_i32_e32 v9, 31, v8
	v_lshlrev_b64 v[8:9], 4, v[8:9]
	s_delay_alu instid0(VALU_DEP_1) | instskip(NEXT) | instid1(VALU_DEP_2)
	v_add_co_u32 v8, vcc_lo, s8, v8
	v_add_co_ci_u32_e32 v9, vcc_lo, s9, v9, vcc_lo
	s_and_b32 vcc_lo, exec_lo, s7
	global_load_b128 v[8:11], v[8:9], off
	s_cbranch_vccz .LBB26_119
; %bb.114:                              ;   in Loop: Header=BB26_110 Depth=3
	v_mad_u64_u32 v[12:13], null, v38, s14, v[24:25]
	s_cbranch_execnz .LBB26_116
.LBB26_115:                             ;   in Loop: Header=BB26_110 Depth=3
	v_add_nc_u32_e32 v12, v36, v37
.LBB26_116:                             ;   in Loop: Header=BB26_110 Depth=3
	s_delay_alu instid0(VALU_DEP_1) | instskip(NEXT) | instid1(VALU_DEP_1)
	v_ashrrev_i32_e32 v13, 31, v12
	v_lshlrev_b64 v[12:13], 4, v[12:13]
	s_delay_alu instid0(VALU_DEP_1) | instskip(NEXT) | instid1(VALU_DEP_2)
	v_add_co_u32 v12, vcc_lo, s8, v12
	v_add_co_ci_u32_e32 v13, vcc_lo, s9, v13, vcc_lo
	s_and_b32 vcc_lo, exec_lo, s7
	global_load_b128 v[12:15], v[12:13], off
	s_cbranch_vccz .LBB26_120
; %bb.117:                              ;   in Loop: Header=BB26_110 Depth=3
	v_mad_u64_u32 v[27:28], null, v38, s14, v[24:25]
	s_cbranch_execnz .LBB26_109
	s_branch .LBB26_108
.LBB26_118:                             ;   in Loop: Header=BB26_110 Depth=3
                                        ; implicit-def: $vgpr8
	s_branch .LBB26_112
.LBB26_119:                             ;   in Loop: Header=BB26_110 Depth=3
                                        ; implicit-def: $vgpr12
	s_branch .LBB26_115
.LBB26_120:                             ;   in Loop: Header=BB26_110 Depth=3
                                        ; implicit-def: $vgpr27
	s_branch .LBB26_108
.LBB26_121:                             ;   in Loop: Header=BB26_100 Depth=2
                                        ; implicit-def: $vgpr4
	s_branch .LBB26_102
.LBB26_122:                             ;   in Loop: Header=BB26_100 Depth=2
                                        ; implicit-def: $vgpr8
	s_branch .LBB26_105
.LBB26_123:                             ;   in Loop: Header=BB26_84 Depth=1
	s_or_b32 exec_lo, exec_lo, s22
	s_delay_alu instid0(SALU_CYCLE_1)
	s_and_b32 s1, s16, exec_lo
	s_and_not1_b32 s17, s17, exec_lo
.LBB26_124:                             ;   in Loop: Header=BB26_84 Depth=1
	s_or_b32 exec_lo, exec_lo, s21
	s_delay_alu instid0(SALU_CYCLE_1) | instskip(SKIP_1) | instid1(SALU_CYCLE_1)
	s_and_not1_b32 s2, s16, exec_lo
	s_and_b32 s1, s1, exec_lo
	s_or_b32 s16, s2, s1
	s_and_saveexec_b32 s1, s17
	s_cbranch_execz .LBB26_83
; %bb.125:                              ;   in Loop: Header=BB26_84 Depth=1
	v_add_nc_u32_e32 v35, 1, v21
	s_or_b32 s16, s16, exec_lo
	s_branch .LBB26_83
.LBB26_126:
	s_or_b32 exec_lo, exec_lo, s6
	s_delay_alu instid0(SALU_CYCLE_1) | instskip(SKIP_1) | instid1(SALU_CYCLE_1)
	s_and_not1_b32 s0, s3, exec_lo
	s_and_b32 s1, s11, exec_lo
	s_or_b32 s3, s0, s1
.LBB26_127:
	s_or_b32 exec_lo, exec_lo, s5
	v_add_nc_u32_e32 v15, 1, v20
	s_mov_b32 s1, exec_lo
	s_delay_alu instid0(VALU_DEP_1)
	v_cmpx_lt_i32_e64 v15, v33
	s_cbranch_execz .LBB26_151
; %bb.128:
	v_mul_lo_u32 v20, v20, s14
	s_mul_i32 s2, s14, s14
	v_cmp_gt_i32_e64 s0, s14, v19
	v_mul_lo_u32 v0, s2, v15
	s_cmp_lg_u32 s20, 0
	s_mov_b32 s5, 0
	s_cselect_b32 s6, -1, 0
	s_add_i32 s7, s14, 1
	v_mad_u64_u32 v[12:13], null, s14, v20, s[14:15]
	s_delay_alu instid0(VALU_DEP_2)
	v_add3_u32 v21, v0, s14, v19
	s_branch .LBB26_130
.LBB26_129:                             ;   in Loop: Header=BB26_130 Depth=1
	v_add_nc_u32_e32 v15, 1, v15
	v_add_nc_u32_e32 v21, s2, v21
	s_delay_alu instid0(VALU_DEP_2) | instskip(SKIP_1) | instid1(SALU_CYCLE_1)
	v_cmp_ge_i32_e32 vcc_lo, v15, v33
	s_or_b32 s5, vcc_lo, s5
	s_and_not1_b32 exec_lo, exec_lo, s5
	s_cbranch_execz .LBB26_151
.LBB26_130:                             ; =>This Loop Header: Depth=1
                                        ;     Child Loop BB26_133 Depth 2
                                        ;       Child Loop BB26_136 Depth 3
                                        ;         Child Loop BB26_140 Depth 4
	s_and_not1_b32 vcc_lo, exec_lo, s4
	s_cbranch_vccnz .LBB26_129
; %bb.131:                              ;   in Loop: Header=BB26_130 Depth=1
	v_mul_lo_u32 v22, v15, s14
	s_delay_alu instid0(VALU_DEP_3)
	v_dual_mov_b32 v23, v21 :: v_dual_mov_b32 v24, v12
	s_mov_b32 s10, 0
	s_branch .LBB26_133
.LBB26_132:                             ;   in Loop: Header=BB26_133 Depth=2
	s_or_b32 exec_lo, exec_lo, s16
	v_add_nc_u32_e32 v24, s7, v24
	v_add_nc_u32_e32 v23, s14, v23
	s_cmp_eq_u32 s11, s14
	s_mov_b32 s10, s11
	s_cbranch_scc1 .LBB26_129
.LBB26_133:                             ;   Parent Loop BB26_130 Depth=1
                                        ; =>  This Loop Header: Depth=2
                                        ;       Child Loop BB26_136 Depth 3
                                        ;         Child Loop BB26_140 Depth 4
	s_add_i32 s11, s10, 1
	s_and_saveexec_b32 s16, s0
	s_cbranch_execz .LBB26_132
; %bb.134:                              ;   in Loop: Header=BB26_133 Depth=2
	v_dual_mov_b32 v27, v23 :: v_dual_add_nc_u32 v0, s10, v20
	v_dual_mov_b32 v28, v19 :: v_dual_add_nc_u32 v1, s10, v22
	s_cmp_lt_i32 s11, s14
	s_delay_alu instid0(VALU_DEP_2) | instskip(SKIP_1) | instid1(VALU_DEP_2)
	v_mul_lo_u32 v25, v0, s14
	s_cselect_b32 s17, -1, 0
	v_mul_lo_u32 v26, v1, s14
	s_mov_b32 s20, 0
	s_branch .LBB26_136
.LBB26_135:                             ;   in Loop: Header=BB26_136 Depth=3
	v_add_nc_u32_e32 v28, 64, v28
	v_add_nc_u32_e32 v27, 64, v27
	s_delay_alu instid0(VALU_DEP_2) | instskip(SKIP_1) | instid1(SALU_CYCLE_1)
	v_cmp_le_i32_e32 vcc_lo, s14, v28
	s_or_b32 s20, vcc_lo, s20
	s_and_not1_b32 exec_lo, exec_lo, s20
	s_cbranch_execz .LBB26_132
.LBB26_136:                             ;   Parent Loop BB26_130 Depth=1
                                        ;     Parent Loop BB26_133 Depth=2
                                        ; =>    This Loop Header: Depth=3
                                        ;         Child Loop BB26_140 Depth 4
	s_and_not1_b32 vcc_lo, exec_lo, s17
	s_cbranch_vccnz .LBB26_135
; %bb.137:                              ;   in Loop: Header=BB26_136 Depth=3
	v_add_nc_u32_e32 v0, v28, v22
	s_delay_alu instid0(VALU_DEP_2) | instskip(SKIP_2) | instid1(VALU_DEP_2)
	v_add_nc_u32_e32 v31, v28, v26
	s_mov_b32 s21, 0
	s_mov_b32 s22, s11
	v_mul_lo_u32 v29, v0, s14
	s_delay_alu instid0(VALU_DEP_1)
	v_add_nc_u32_e32 v30, s10, v29
	s_branch .LBB26_140
.LBB26_138:                             ;   in Loop: Header=BB26_140 Depth=4
	v_mov_b32_e32 v13, v14
.LBB26_139:                             ;   in Loop: Header=BB26_140 Depth=4
	s_waitcnt vmcnt(0)
	v_fma_f64 v[8:9], -v[0:1], v[4:5], v[8:9]
	v_fma_f64 v[4:5], -v[2:3], v[4:5], v[10:11]
	s_delay_alu instid0(VALU_DEP_3) | instskip(SKIP_3) | instid1(VALU_DEP_3)
	v_ashrrev_i32_e32 v14, 31, v13
	s_add_i32 s22, s22, 1
	s_add_i32 s21, s21, s14
	s_cmp_ge_i32 s22, s14
	v_fma_f64 v[2:3], v[2:3], v[6:7], v[8:9]
	s_delay_alu instid0(VALU_DEP_3) | instskip(SKIP_1) | instid1(VALU_DEP_1)
	v_fma_f64 v[4:5], -v[0:1], v[6:7], v[4:5]
	v_lshlrev_b64 v[0:1], 4, v[13:14]
	v_add_co_u32 v0, vcc_lo, s8, v0
	s_delay_alu instid0(VALU_DEP_2)
	v_add_co_ci_u32_e32 v1, vcc_lo, s9, v1, vcc_lo
	global_store_b128 v[0:1], v[2:5], off
	s_cbranch_scc1 .LBB26_135
.LBB26_140:                             ;   Parent Loop BB26_130 Depth=1
                                        ;     Parent Loop BB26_133 Depth=2
                                        ;       Parent Loop BB26_136 Depth=3
                                        ; =>      This Inner Loop Header: Depth=4
	s_and_b32 vcc_lo, exec_lo, s6
	s_cbranch_vccz .LBB26_148
; %bb.141:                              ;   in Loop: Header=BB26_140 Depth=4
	v_add_nc_u32_e32 v0, s22, v25
	v_mov_b32_e32 v2, v30
	s_cbranch_execnz .LBB26_143
.LBB26_142:                             ;   in Loop: Header=BB26_140 Depth=4
	v_add_nc_u32_e32 v0, s21, v24
	v_mov_b32_e32 v2, v31
.LBB26_143:                             ;   in Loop: Header=BB26_140 Depth=4
	s_delay_alu instid0(VALU_DEP_2) | instskip(NEXT) | instid1(VALU_DEP_2)
	v_ashrrev_i32_e32 v1, 31, v0
	v_ashrrev_i32_e32 v3, 31, v2
	v_add_nc_u32_e32 v13, s22, v29
	s_delay_alu instid0(VALU_DEP_3) | instskip(NEXT) | instid1(VALU_DEP_3)
	v_lshlrev_b64 v[0:1], 4, v[0:1]
	v_lshlrev_b64 v[2:3], 4, v[2:3]
	s_delay_alu instid0(VALU_DEP_2) | instskip(NEXT) | instid1(VALU_DEP_3)
	v_add_co_u32 v0, vcc_lo, s8, v0
	v_add_co_ci_u32_e32 v1, vcc_lo, s9, v1, vcc_lo
	s_delay_alu instid0(VALU_DEP_3) | instskip(NEXT) | instid1(VALU_DEP_4)
	v_add_co_u32 v4, vcc_lo, s8, v2
	v_add_co_ci_u32_e32 v5, vcc_lo, s9, v3, vcc_lo
	s_and_b32 vcc_lo, exec_lo, s6
	s_clause 0x1
	global_load_b128 v[0:3], v[0:1], off
	global_load_b128 v[4:7], v[4:5], off
	s_cbranch_vccz .LBB26_149
; %bb.144:                              ;   in Loop: Header=BB26_140 Depth=4
	v_add_nc_u32_e32 v8, s22, v29
	v_add_nc_u32_e32 v14, s21, v27
	s_cbranch_execnz .LBB26_146
.LBB26_145:                             ;   in Loop: Header=BB26_140 Depth=4
	v_add_nc_u32_e32 v8, s21, v27
.LBB26_146:                             ;   in Loop: Header=BB26_140 Depth=4
	s_delay_alu instid0(VALU_DEP_1) | instskip(NEXT) | instid1(VALU_DEP_1)
	v_ashrrev_i32_e32 v9, 31, v8
	v_lshlrev_b64 v[8:9], 4, v[8:9]
	s_delay_alu instid0(VALU_DEP_1) | instskip(NEXT) | instid1(VALU_DEP_2)
	v_add_co_u32 v8, vcc_lo, s8, v8
	v_add_co_ci_u32_e32 v9, vcc_lo, s9, v9, vcc_lo
	s_and_b32 vcc_lo, exec_lo, s6
	global_load_b128 v[8:11], v[8:9], off
	s_cbranch_vccz .LBB26_150
; %bb.147:                              ;   in Loop: Header=BB26_140 Depth=4
	s_cbranch_execnz .LBB26_139
	s_branch .LBB26_138
.LBB26_148:                             ;   in Loop: Header=BB26_140 Depth=4
                                        ; implicit-def: $vgpr0
	s_delay_alu instid0(VALU_DEP_1)
	v_mov_b32_e32 v2, v30
	s_branch .LBB26_142
.LBB26_149:                             ;   in Loop: Header=BB26_140 Depth=4
                                        ; implicit-def: $vgpr8
	v_add_nc_u32_e32 v14, s21, v27
	s_branch .LBB26_145
.LBB26_150:                             ;   in Loop: Header=BB26_140 Depth=4
                                        ; implicit-def: $vgpr13
	s_branch .LBB26_138
.LBB26_151:
	s_or_b32 exec_lo, exec_lo, s1
	s_delay_alu instid0(SALU_CYCLE_1)
	s_or_not1_b32 s0, s3, exec_lo
.LBB26_152:
	s_or_b32 exec_lo, exec_lo, s15
	v_cmp_eq_u32_e32 vcc_lo, 0, v19
	s_and_b32 exec_lo, exec_lo, vcc_lo
	s_cbranch_execz .LBB26_158
; %bb.153:
	v_add_co_u32 v0, vcc_lo, s12, v17
	v_add_co_ci_u32_e32 v1, vcc_lo, s13, v18, vcc_lo
	v_mov_b32_e32 v2, 1
	s_waitcnt_vscnt null, 0x0
	global_store_b32 v[0:1], v2, off
	s_and_b32 exec_lo, exec_lo, s0
	s_cbranch_execz .LBB26_158
; %bb.154:
	v_add_nc_u32_e32 v0, s24, v16
	s_mov_b32 s1, exec_lo
	s_brev_b32 s0, -2
.LBB26_155:                             ; =>This Inner Loop Header: Depth=1
	s_ctz_i32_b32 s2, s1
	s_delay_alu instid0(VALU_DEP_1) | instid1(SALU_CYCLE_1)
	v_readlane_b32 s3, v0, s2
	s_lshl_b32 s2, 1, s2
	s_delay_alu instid0(SALU_CYCLE_1) | instskip(NEXT) | instid1(VALU_DEP_1)
	s_and_not1_b32 s1, s1, s2
	s_min_i32 s0, s0, s3
	s_cmp_lg_u32 s1, 0
	s_cbranch_scc1 .LBB26_155
; %bb.156:
	v_mbcnt_lo_u32_b32 v0, exec_lo, 0
	s_mov_b32 s1, exec_lo
	s_delay_alu instid0(VALU_DEP_1)
	v_cmpx_eq_u32_e32 0, v0
	s_xor_b32 s1, exec_lo, s1
	s_cbranch_execz .LBB26_158
; %bb.157:
	v_dual_mov_b32 v0, 0 :: v_dual_mov_b32 v1, s0
	global_atomic_min_i32 v0, v1, s[18:19]
.LBB26_158:
	s_endpgm
	.section	.rodata,"a",@progbits
	.p2align	6, 0x0
	.amdhsa_kernel _ZN9rocsparseL15bsrilu0_generalILj128ELj64ELb0E21rocsparse_complex_numIdEEEv20rocsparse_direction_iPKiS5_PT2_S5_iPiS5_S8_21rocsparse_index_base_imNS_24const_host_device_scalarIfEENSA_IdEENSA_IS6_EEb
		.amdhsa_group_segment_fixed_size 1024
		.amdhsa_private_segment_fixed_size 40
		.amdhsa_kernarg_size 124
		.amdhsa_user_sgpr_count 15
		.amdhsa_user_sgpr_dispatch_ptr 1
		.amdhsa_user_sgpr_queue_ptr 0
		.amdhsa_user_sgpr_kernarg_segment_ptr 1
		.amdhsa_user_sgpr_dispatch_id 0
		.amdhsa_user_sgpr_private_segment_size 0
		.amdhsa_wavefront_size32 1
		.amdhsa_uses_dynamic_stack 0
		.amdhsa_enable_private_segment 1
		.amdhsa_system_sgpr_workgroup_id_x 1
		.amdhsa_system_sgpr_workgroup_id_y 0
		.amdhsa_system_sgpr_workgroup_id_z 0
		.amdhsa_system_sgpr_workgroup_info 0
		.amdhsa_system_vgpr_workitem_id 2
		.amdhsa_next_free_vgpr 48
		.amdhsa_next_free_sgpr 43
		.amdhsa_reserve_vcc 1
		.amdhsa_float_round_mode_32 0
		.amdhsa_float_round_mode_16_64 0
		.amdhsa_float_denorm_mode_32 3
		.amdhsa_float_denorm_mode_16_64 3
		.amdhsa_dx10_clamp 1
		.amdhsa_ieee_mode 1
		.amdhsa_fp16_overflow 0
		.amdhsa_workgroup_processor_mode 1
		.amdhsa_memory_ordered 1
		.amdhsa_forward_progress 0
		.amdhsa_shared_vgpr_count 0
		.amdhsa_exception_fp_ieee_invalid_op 0
		.amdhsa_exception_fp_denorm_src 0
		.amdhsa_exception_fp_ieee_div_zero 0
		.amdhsa_exception_fp_ieee_overflow 0
		.amdhsa_exception_fp_ieee_underflow 0
		.amdhsa_exception_fp_ieee_inexact 0
		.amdhsa_exception_int_div_zero 0
	.end_amdhsa_kernel
	.section	.text._ZN9rocsparseL15bsrilu0_generalILj128ELj64ELb0E21rocsparse_complex_numIdEEEv20rocsparse_direction_iPKiS5_PT2_S5_iPiS5_S8_21rocsparse_index_base_imNS_24const_host_device_scalarIfEENSA_IdEENSA_IS6_EEb,"axG",@progbits,_ZN9rocsparseL15bsrilu0_generalILj128ELj64ELb0E21rocsparse_complex_numIdEEEv20rocsparse_direction_iPKiS5_PT2_S5_iPiS5_S8_21rocsparse_index_base_imNS_24const_host_device_scalarIfEENSA_IdEENSA_IS6_EEb,comdat
.Lfunc_end26:
	.size	_ZN9rocsparseL15bsrilu0_generalILj128ELj64ELb0E21rocsparse_complex_numIdEEEv20rocsparse_direction_iPKiS5_PT2_S5_iPiS5_S8_21rocsparse_index_base_imNS_24const_host_device_scalarIfEENSA_IdEENSA_IS6_EEb, .Lfunc_end26-_ZN9rocsparseL15bsrilu0_generalILj128ELj64ELb0E21rocsparse_complex_numIdEEEv20rocsparse_direction_iPKiS5_PT2_S5_iPiS5_S8_21rocsparse_index_base_imNS_24const_host_device_scalarIfEENSA_IdEENSA_IS6_EEb
                                        ; -- End function
	.section	.AMDGPU.csdata,"",@progbits
; Kernel info:
; codeLenInByte = 5516
; NumSgprs: 45
; NumVgprs: 48
; ScratchSize: 40
; MemoryBound: 0
; FloatMode: 240
; IeeeMode: 1
; LDSByteSize: 1024 bytes/workgroup (compile time only)
; SGPRBlocks: 5
; VGPRBlocks: 5
; NumSGPRsForWavesPerEU: 45
; NumVGPRsForWavesPerEU: 48
; Occupancy: 16
; WaveLimiterHint : 1
; COMPUTE_PGM_RSRC2:SCRATCH_EN: 1
; COMPUTE_PGM_RSRC2:USER_SGPR: 15
; COMPUTE_PGM_RSRC2:TRAP_HANDLER: 0
; COMPUTE_PGM_RSRC2:TGID_X_EN: 1
; COMPUTE_PGM_RSRC2:TGID_Y_EN: 0
; COMPUTE_PGM_RSRC2:TGID_Z_EN: 0
; COMPUTE_PGM_RSRC2:TIDIG_COMP_CNT: 2
	.text
	.p2alignl 7, 3214868480
	.fill 96, 4, 3214868480
	.type	__hip_cuid_f7be9eae0c4575b5,@object ; @__hip_cuid_f7be9eae0c4575b5
	.section	.bss,"aw",@nobits
	.globl	__hip_cuid_f7be9eae0c4575b5
__hip_cuid_f7be9eae0c4575b5:
	.byte	0                               ; 0x0
	.size	__hip_cuid_f7be9eae0c4575b5, 1

	.ident	"AMD clang version 19.0.0git (https://github.com/RadeonOpenCompute/llvm-project roc-6.4.0 25133 c7fe45cf4b819c5991fe208aaa96edf142730f1d)"
	.section	".note.GNU-stack","",@progbits
	.addrsig
	.addrsig_sym __hip_cuid_f7be9eae0c4575b5
	.amdgpu_metadata
---
amdhsa.kernels:
  - .args:
      - .offset:         0
        .size:           4
        .value_kind:     by_value
      - .offset:         4
        .size:           4
        .value_kind:     by_value
      - .address_space:  global
        .offset:         8
        .size:           8
        .value_kind:     global_buffer
      - .address_space:  global
        .offset:         16
        .size:           8
        .value_kind:     global_buffer
      - .address_space:  global
        .offset:         24
        .size:           8
        .value_kind:     global_buffer
      - .address_space:  global
        .offset:         32
        .size:           8
        .value_kind:     global_buffer
      - .offset:         40
        .size:           4
        .value_kind:     by_value
      - .address_space:  global
        .offset:         48
        .size:           8
        .value_kind:     global_buffer
      - .address_space:  global
        .offset:         56
        .size:           8
        .value_kind:     global_buffer
      - .address_space:  global
        .offset:         64
        .size:           8
        .value_kind:     global_buffer
      - .offset:         72
        .size:           4
        .value_kind:     by_value
      - .offset:         76
        .size:           4
        .value_kind:     by_value
      - .offset:         80
        .size:           8
        .value_kind:     by_value
      - .offset:         88
        .size:           8
        .value_kind:     by_value
      - .offset:         96
        .size:           8
        .value_kind:     by_value
      - .offset:         104
        .size:           8
        .value_kind:     by_value
      - .offset:         112
        .size:           1
        .value_kind:     by_value
    .group_segment_fixed_size: 0
    .kernarg_segment_align: 8
    .kernarg_segment_size: 116
    .language:       OpenCL C
    .language_version:
      - 2
      - 0
    .max_flat_workgroup_size: 128
    .name:           _ZN9rocsparseL15bsrilu0_generalILj128ELj64ELb1EfEEv20rocsparse_direction_iPKiS3_PT2_S3_iPiS3_S6_21rocsparse_index_base_imNS_24const_host_device_scalarIfEENS8_IdEENS8_IS4_EEb
    .private_segment_fixed_size: 0
    .sgpr_count:     46
    .sgpr_spill_count: 0
    .symbol:         _ZN9rocsparseL15bsrilu0_generalILj128ELj64ELb1EfEEv20rocsparse_direction_iPKiS3_PT2_S3_iPiS3_S6_21rocsparse_index_base_imNS_24const_host_device_scalarIfEENS8_IdEENS8_IS4_EEb.kd
    .uniform_work_group_size: 1
    .uses_dynamic_stack: false
    .vgpr_count:     34
    .vgpr_spill_count: 0
    .wavefront_size: 32
    .workgroup_processor_mode: 1
  - .args:
      - .offset:         0
        .size:           4
        .value_kind:     by_value
      - .offset:         4
        .size:           4
        .value_kind:     by_value
      - .address_space:  global
        .offset:         8
        .size:           8
        .value_kind:     global_buffer
      - .address_space:  global
        .offset:         16
        .size:           8
        .value_kind:     global_buffer
      - .address_space:  global
        .offset:         24
        .size:           8
        .value_kind:     global_buffer
      - .address_space:  global
        .offset:         32
        .size:           8
        .value_kind:     global_buffer
      - .offset:         40
        .size:           4
        .value_kind:     by_value
      - .address_space:  global
        .offset:         48
        .size:           8
        .value_kind:     global_buffer
      - .address_space:  global
        .offset:         56
        .size:           8
        .value_kind:     global_buffer
      - .address_space:  global
        .offset:         64
        .size:           8
        .value_kind:     global_buffer
      - .offset:         72
        .size:           4
        .value_kind:     by_value
      - .offset:         76
        .size:           4
        .value_kind:     by_value
      - .offset:         80
        .size:           8
        .value_kind:     by_value
      - .offset:         88
        .size:           8
        .value_kind:     by_value
      - .offset:         96
        .size:           8
        .value_kind:     by_value
      - .offset:         104
        .size:           8
        .value_kind:     by_value
      - .offset:         112
        .size:           1
        .value_kind:     by_value
    .group_segment_fixed_size: 0
    .kernarg_segment_align: 8
    .kernarg_segment_size: 116
    .language:       OpenCL C
    .language_version:
      - 2
      - 0
    .max_flat_workgroup_size: 128
    .name:           _ZN9rocsparseL15bsrilu0_generalILj128ELj32ELb0EfEEv20rocsparse_direction_iPKiS3_PT2_S3_iPiS3_S6_21rocsparse_index_base_imNS_24const_host_device_scalarIfEENS8_IdEENS8_IS4_EEb
    .private_segment_fixed_size: 0
    .sgpr_count:     46
    .sgpr_spill_count: 0
    .symbol:         _ZN9rocsparseL15bsrilu0_generalILj128ELj32ELb0EfEEv20rocsparse_direction_iPKiS3_PT2_S3_iPiS3_S6_21rocsparse_index_base_imNS_24const_host_device_scalarIfEENS8_IdEENS8_IS4_EEb.kd
    .uniform_work_group_size: 1
    .uses_dynamic_stack: false
    .vgpr_count:     34
    .vgpr_spill_count: 0
    .wavefront_size: 32
    .workgroup_processor_mode: 1
  - .args:
      - .offset:         0
        .size:           4
        .value_kind:     by_value
      - .offset:         4
        .size:           4
        .value_kind:     by_value
      - .address_space:  global
        .offset:         8
        .size:           8
        .value_kind:     global_buffer
      - .address_space:  global
        .offset:         16
        .size:           8
        .value_kind:     global_buffer
      - .address_space:  global
        .offset:         24
        .size:           8
        .value_kind:     global_buffer
      - .address_space:  global
        .offset:         32
        .size:           8
        .value_kind:     global_buffer
      - .offset:         40
        .size:           4
        .value_kind:     by_value
      - .address_space:  global
        .offset:         48
        .size:           8
        .value_kind:     global_buffer
      - .address_space:  global
        .offset:         56
        .size:           8
        .value_kind:     global_buffer
      - .address_space:  global
        .offset:         64
        .size:           8
        .value_kind:     global_buffer
      - .offset:         72
        .size:           4
        .value_kind:     by_value
      - .offset:         76
        .size:           4
        .value_kind:     by_value
      - .offset:         80
        .size:           8
        .value_kind:     by_value
      - .offset:         88
        .size:           8
        .value_kind:     by_value
      - .offset:         96
        .size:           8
        .value_kind:     by_value
      - .offset:         104
        .size:           8
        .value_kind:     by_value
      - .offset:         112
        .size:           1
        .value_kind:     by_value
      - .offset:         120
        .size:           4
        .value_kind:     hidden_block_count_x
      - .offset:         124
        .size:           4
        .value_kind:     hidden_block_count_y
      - .offset:         128
        .size:           4
        .value_kind:     hidden_block_count_z
      - .offset:         132
        .size:           2
        .value_kind:     hidden_group_size_x
      - .offset:         134
        .size:           2
        .value_kind:     hidden_group_size_y
      - .offset:         136
        .size:           2
        .value_kind:     hidden_group_size_z
      - .offset:         138
        .size:           2
        .value_kind:     hidden_remainder_x
      - .offset:         140
        .size:           2
        .value_kind:     hidden_remainder_y
      - .offset:         142
        .size:           2
        .value_kind:     hidden_remainder_z
      - .offset:         160
        .size:           8
        .value_kind:     hidden_global_offset_x
      - .offset:         168
        .size:           8
        .value_kind:     hidden_global_offset_y
      - .offset:         176
        .size:           8
        .value_kind:     hidden_global_offset_z
      - .offset:         184
        .size:           2
        .value_kind:     hidden_grid_dims
    .group_segment_fixed_size: 576
    .kernarg_segment_align: 8
    .kernarg_segment_size: 376
    .language:       OpenCL C
    .language_version:
      - 2
      - 0
    .max_flat_workgroup_size: 64
    .name:           _ZN9rocsparseL11bsrilu0_2_8ILj64ELj64ELj8EfEEv20rocsparse_direction_iPKiS3_PT2_S3_iPiS3_S6_21rocsparse_index_base_imNS_24const_host_device_scalarIfEENS8_IdEENS8_IS4_EEb
    .private_segment_fixed_size: 0
    .sgpr_count:     46
    .sgpr_spill_count: 0
    .symbol:         _ZN9rocsparseL11bsrilu0_2_8ILj64ELj64ELj8EfEEv20rocsparse_direction_iPKiS3_PT2_S3_iPiS3_S6_21rocsparse_index_base_imNS_24const_host_device_scalarIfEENS8_IdEENS8_IS4_EEb.kd
    .uniform_work_group_size: 1
    .uses_dynamic_stack: false
    .vgpr_count:     33
    .vgpr_spill_count: 0
    .wavefront_size: 32
    .workgroup_processor_mode: 1
  - .args:
      - .offset:         0
        .size:           4
        .value_kind:     by_value
      - .offset:         4
        .size:           4
        .value_kind:     by_value
      - .address_space:  global
        .offset:         8
        .size:           8
        .value_kind:     global_buffer
      - .address_space:  global
        .offset:         16
        .size:           8
        .value_kind:     global_buffer
      - .address_space:  global
        .offset:         24
        .size:           8
        .value_kind:     global_buffer
      - .address_space:  global
        .offset:         32
        .size:           8
        .value_kind:     global_buffer
      - .offset:         40
        .size:           4
        .value_kind:     by_value
      - .address_space:  global
        .offset:         48
        .size:           8
        .value_kind:     global_buffer
      - .address_space:  global
        .offset:         56
        .size:           8
        .value_kind:     global_buffer
      - .address_space:  global
        .offset:         64
        .size:           8
        .value_kind:     global_buffer
      - .offset:         72
        .size:           4
        .value_kind:     by_value
      - .offset:         76
        .size:           4
        .value_kind:     by_value
      - .offset:         80
        .size:           8
        .value_kind:     by_value
      - .offset:         88
        .size:           8
        .value_kind:     by_value
      - .offset:         96
        .size:           8
        .value_kind:     by_value
      - .offset:         104
        .size:           8
        .value_kind:     by_value
      - .offset:         112
        .size:           1
        .value_kind:     by_value
    .group_segment_fixed_size: 2176
    .kernarg_segment_align: 8
    .kernarg_segment_size: 116
    .language:       OpenCL C
    .language_version:
      - 2
      - 0
    .max_flat_workgroup_size: 64
    .name:           _ZN9rocsparseL12bsrilu0_9_32ILj64ELj64ELj16EfEEv20rocsparse_direction_iPKiS3_PT2_S3_iPiS3_S6_21rocsparse_index_base_imNS_24const_host_device_scalarIfEENS8_IdEENS8_IS4_EEb
    .private_segment_fixed_size: 0
    .sgpr_count:     54
    .sgpr_spill_count: 0
    .symbol:         _ZN9rocsparseL12bsrilu0_9_32ILj64ELj64ELj16EfEEv20rocsparse_direction_iPKiS3_PT2_S3_iPiS3_S6_21rocsparse_index_base_imNS_24const_host_device_scalarIfEENS8_IdEENS8_IS4_EEb.kd
    .uniform_work_group_size: 1
    .uses_dynamic_stack: false
    .vgpr_count:     37
    .vgpr_spill_count: 0
    .wavefront_size: 32
    .workgroup_processor_mode: 1
  - .args:
      - .offset:         0
        .size:           4
        .value_kind:     by_value
      - .offset:         4
        .size:           4
        .value_kind:     by_value
      - .address_space:  global
        .offset:         8
        .size:           8
        .value_kind:     global_buffer
      - .address_space:  global
        .offset:         16
        .size:           8
        .value_kind:     global_buffer
      - .address_space:  global
        .offset:         24
        .size:           8
        .value_kind:     global_buffer
      - .address_space:  global
        .offset:         32
        .size:           8
        .value_kind:     global_buffer
      - .offset:         40
        .size:           4
        .value_kind:     by_value
      - .address_space:  global
        .offset:         48
        .size:           8
        .value_kind:     global_buffer
      - .address_space:  global
        .offset:         56
        .size:           8
        .value_kind:     global_buffer
      - .address_space:  global
        .offset:         64
        .size:           8
        .value_kind:     global_buffer
      - .offset:         72
        .size:           4
        .value_kind:     by_value
      - .offset:         76
        .size:           4
        .value_kind:     by_value
      - .offset:         80
        .size:           8
        .value_kind:     by_value
      - .offset:         88
        .size:           8
        .value_kind:     by_value
      - .offset:         96
        .size:           8
        .value_kind:     by_value
      - .offset:         104
        .size:           8
        .value_kind:     by_value
      - .offset:         112
        .size:           1
        .value_kind:     by_value
    .group_segment_fixed_size: 8448
    .kernarg_segment_align: 8
    .kernarg_segment_size: 116
    .language:       OpenCL C
    .language_version:
      - 2
      - 0
    .max_flat_workgroup_size: 64
    .name:           _ZN9rocsparseL12bsrilu0_9_32ILj64ELj64ELj32EfEEv20rocsparse_direction_iPKiS3_PT2_S3_iPiS3_S6_21rocsparse_index_base_imNS_24const_host_device_scalarIfEENS8_IdEENS8_IS4_EEb
    .private_segment_fixed_size: 0
    .sgpr_count:     54
    .sgpr_spill_count: 0
    .symbol:         _ZN9rocsparseL12bsrilu0_9_32ILj64ELj64ELj32EfEEv20rocsparse_direction_iPKiS3_PT2_S3_iPiS3_S6_21rocsparse_index_base_imNS_24const_host_device_scalarIfEENS8_IdEENS8_IS4_EEb.kd
    .uniform_work_group_size: 1
    .uses_dynamic_stack: false
    .vgpr_count:     37
    .vgpr_spill_count: 0
    .wavefront_size: 32
    .workgroup_processor_mode: 1
  - .args:
      - .offset:         0
        .size:           4
        .value_kind:     by_value
      - .offset:         4
        .size:           4
        .value_kind:     by_value
      - .address_space:  global
        .offset:         8
        .size:           8
        .value_kind:     global_buffer
      - .address_space:  global
        .offset:         16
        .size:           8
        .value_kind:     global_buffer
      - .address_space:  global
        .offset:         24
        .size:           8
        .value_kind:     global_buffer
      - .address_space:  global
        .offset:         32
        .size:           8
        .value_kind:     global_buffer
      - .offset:         40
        .size:           4
        .value_kind:     by_value
      - .address_space:  global
        .offset:         48
        .size:           8
        .value_kind:     global_buffer
      - .address_space:  global
        .offset:         56
        .size:           8
        .value_kind:     global_buffer
      - .address_space:  global
        .offset:         64
        .size:           8
        .value_kind:     global_buffer
      - .offset:         72
        .size:           4
        .value_kind:     by_value
      - .offset:         76
        .size:           4
        .value_kind:     by_value
      - .offset:         80
        .size:           8
        .value_kind:     by_value
      - .offset:         88
        .size:           8
        .value_kind:     by_value
      - .offset:         96
        .size:           8
        .value_kind:     by_value
      - .offset:         104
        .size:           8
        .value_kind:     by_value
      - .offset:         112
        .size:           1
        .value_kind:     by_value
    .group_segment_fixed_size: 16640
    .kernarg_segment_align: 8
    .kernarg_segment_size: 116
    .language:       OpenCL C
    .language_version:
      - 2
      - 0
    .max_flat_workgroup_size: 64
    .name:           _ZN9rocsparseL13bsrilu0_33_64ILj64ELj64ELj64EfEEv20rocsparse_direction_iPKiS3_PT2_S3_iPiS3_S6_21rocsparse_index_base_imNS_24const_host_device_scalarIfEENS8_IdEENS8_IS4_EEb
    .private_segment_fixed_size: 0
    .sgpr_count:     52
    .sgpr_spill_count: 0
    .symbol:         _ZN9rocsparseL13bsrilu0_33_64ILj64ELj64ELj64EfEEv20rocsparse_direction_iPKiS3_PT2_S3_iPiS3_S6_21rocsparse_index_base_imNS_24const_host_device_scalarIfEENS8_IdEENS8_IS4_EEb.kd
    .uniform_work_group_size: 1
    .uses_dynamic_stack: false
    .vgpr_count:     32
    .vgpr_spill_count: 0
    .wavefront_size: 32
    .workgroup_processor_mode: 1
  - .args:
      - .offset:         0
        .size:           4
        .value_kind:     by_value
      - .offset:         4
        .size:           4
        .value_kind:     by_value
      - .address_space:  global
        .offset:         8
        .size:           8
        .value_kind:     global_buffer
      - .address_space:  global
        .offset:         16
        .size:           8
        .value_kind:     global_buffer
      - .address_space:  global
        .offset:         24
        .size:           8
        .value_kind:     global_buffer
      - .address_space:  global
        .offset:         32
        .size:           8
        .value_kind:     global_buffer
      - .offset:         40
        .size:           4
        .value_kind:     by_value
      - .address_space:  global
        .offset:         48
        .size:           8
        .value_kind:     global_buffer
      - .address_space:  global
        .offset:         56
        .size:           8
        .value_kind:     global_buffer
      - .address_space:  global
        .offset:         64
        .size:           8
        .value_kind:     global_buffer
      - .offset:         72
        .size:           4
        .value_kind:     by_value
      - .offset:         76
        .size:           4
        .value_kind:     by_value
      - .offset:         80
        .size:           8
        .value_kind:     by_value
      - .offset:         88
        .size:           8
        .value_kind:     by_value
      - .offset:         96
        .size:           8
        .value_kind:     by_value
      - .offset:         104
        .size:           8
        .value_kind:     by_value
      - .offset:         112
        .size:           1
        .value_kind:     by_value
    .group_segment_fixed_size: 0
    .kernarg_segment_align: 8
    .kernarg_segment_size: 116
    .language:       OpenCL C
    .language_version:
      - 2
      - 0
    .max_flat_workgroup_size: 128
    .name:           _ZN9rocsparseL15bsrilu0_generalILj128ELj64ELb0EfEEv20rocsparse_direction_iPKiS3_PT2_S3_iPiS3_S6_21rocsparse_index_base_imNS_24const_host_device_scalarIfEENS8_IdEENS8_IS4_EEb
    .private_segment_fixed_size: 0
    .sgpr_count:     46
    .sgpr_spill_count: 0
    .symbol:         _ZN9rocsparseL15bsrilu0_generalILj128ELj64ELb0EfEEv20rocsparse_direction_iPKiS3_PT2_S3_iPiS3_S6_21rocsparse_index_base_imNS_24const_host_device_scalarIfEENS8_IdEENS8_IS4_EEb.kd
    .uniform_work_group_size: 1
    .uses_dynamic_stack: false
    .vgpr_count:     34
    .vgpr_spill_count: 0
    .wavefront_size: 32
    .workgroup_processor_mode: 1
  - .args:
      - .offset:         0
        .size:           4
        .value_kind:     by_value
      - .offset:         4
        .size:           4
        .value_kind:     by_value
      - .address_space:  global
        .offset:         8
        .size:           8
        .value_kind:     global_buffer
      - .address_space:  global
        .offset:         16
        .size:           8
        .value_kind:     global_buffer
      - .address_space:  global
        .offset:         24
        .size:           8
        .value_kind:     global_buffer
      - .address_space:  global
        .offset:         32
        .size:           8
        .value_kind:     global_buffer
      - .offset:         40
        .size:           4
        .value_kind:     by_value
      - .address_space:  global
        .offset:         48
        .size:           8
        .value_kind:     global_buffer
      - .address_space:  global
        .offset:         56
        .size:           8
        .value_kind:     global_buffer
      - .address_space:  global
        .offset:         64
        .size:           8
        .value_kind:     global_buffer
      - .offset:         72
        .size:           4
        .value_kind:     by_value
      - .offset:         76
        .size:           4
        .value_kind:     by_value
      - .offset:         80
        .size:           8
        .value_kind:     by_value
      - .offset:         88
        .size:           8
        .value_kind:     by_value
      - .offset:         96
        .size:           8
        .value_kind:     by_value
      - .offset:         104
        .size:           8
        .value_kind:     by_value
      - .offset:         112
        .size:           1
        .value_kind:     by_value
    .group_segment_fixed_size: 0
    .kernarg_segment_align: 8
    .kernarg_segment_size: 116
    .language:       OpenCL C
    .language_version:
      - 2
      - 0
    .max_flat_workgroup_size: 128
    .name:           _ZN9rocsparseL15bsrilu0_generalILj128ELj64ELb1EdEEv20rocsparse_direction_iPKiS3_PT2_S3_iPiS3_S6_21rocsparse_index_base_imNS_24const_host_device_scalarIfEENS8_IdEENS8_IS4_EEb
    .private_segment_fixed_size: 0
    .sgpr_count:     46
    .sgpr_spill_count: 0
    .symbol:         _ZN9rocsparseL15bsrilu0_generalILj128ELj64ELb1EdEEv20rocsparse_direction_iPKiS3_PT2_S3_iPiS3_S6_21rocsparse_index_base_imNS_24const_host_device_scalarIfEENS8_IdEENS8_IS4_EEb.kd
    .uniform_work_group_size: 1
    .uses_dynamic_stack: false
    .vgpr_count:     40
    .vgpr_spill_count: 0
    .wavefront_size: 32
    .workgroup_processor_mode: 1
  - .args:
      - .offset:         0
        .size:           4
        .value_kind:     by_value
      - .offset:         4
        .size:           4
        .value_kind:     by_value
      - .address_space:  global
        .offset:         8
        .size:           8
        .value_kind:     global_buffer
      - .address_space:  global
        .offset:         16
        .size:           8
        .value_kind:     global_buffer
      - .address_space:  global
        .offset:         24
        .size:           8
        .value_kind:     global_buffer
      - .address_space:  global
        .offset:         32
        .size:           8
        .value_kind:     global_buffer
      - .offset:         40
        .size:           4
        .value_kind:     by_value
      - .address_space:  global
        .offset:         48
        .size:           8
        .value_kind:     global_buffer
      - .address_space:  global
        .offset:         56
        .size:           8
        .value_kind:     global_buffer
      - .address_space:  global
        .offset:         64
        .size:           8
        .value_kind:     global_buffer
      - .offset:         72
        .size:           4
        .value_kind:     by_value
      - .offset:         76
        .size:           4
        .value_kind:     by_value
      - .offset:         80
        .size:           8
        .value_kind:     by_value
      - .offset:         88
        .size:           8
        .value_kind:     by_value
      - .offset:         96
        .size:           8
        .value_kind:     by_value
      - .offset:         104
        .size:           8
        .value_kind:     by_value
      - .offset:         112
        .size:           1
        .value_kind:     by_value
    .group_segment_fixed_size: 0
    .kernarg_segment_align: 8
    .kernarg_segment_size: 116
    .language:       OpenCL C
    .language_version:
      - 2
      - 0
    .max_flat_workgroup_size: 128
    .name:           _ZN9rocsparseL15bsrilu0_generalILj128ELj32ELb0EdEEv20rocsparse_direction_iPKiS3_PT2_S3_iPiS3_S6_21rocsparse_index_base_imNS_24const_host_device_scalarIfEENS8_IdEENS8_IS4_EEb
    .private_segment_fixed_size: 0
    .sgpr_count:     46
    .sgpr_spill_count: 0
    .symbol:         _ZN9rocsparseL15bsrilu0_generalILj128ELj32ELb0EdEEv20rocsparse_direction_iPKiS3_PT2_S3_iPiS3_S6_21rocsparse_index_base_imNS_24const_host_device_scalarIfEENS8_IdEENS8_IS4_EEb.kd
    .uniform_work_group_size: 1
    .uses_dynamic_stack: false
    .vgpr_count:     40
    .vgpr_spill_count: 0
    .wavefront_size: 32
    .workgroup_processor_mode: 1
  - .args:
      - .offset:         0
        .size:           4
        .value_kind:     by_value
      - .offset:         4
        .size:           4
        .value_kind:     by_value
      - .address_space:  global
        .offset:         8
        .size:           8
        .value_kind:     global_buffer
      - .address_space:  global
        .offset:         16
        .size:           8
        .value_kind:     global_buffer
      - .address_space:  global
        .offset:         24
        .size:           8
        .value_kind:     global_buffer
      - .address_space:  global
        .offset:         32
        .size:           8
        .value_kind:     global_buffer
      - .offset:         40
        .size:           4
        .value_kind:     by_value
      - .address_space:  global
        .offset:         48
        .size:           8
        .value_kind:     global_buffer
      - .address_space:  global
        .offset:         56
        .size:           8
        .value_kind:     global_buffer
      - .address_space:  global
        .offset:         64
        .size:           8
        .value_kind:     global_buffer
      - .offset:         72
        .size:           4
        .value_kind:     by_value
      - .offset:         76
        .size:           4
        .value_kind:     by_value
      - .offset:         80
        .size:           8
        .value_kind:     by_value
      - .offset:         88
        .size:           8
        .value_kind:     by_value
      - .offset:         96
        .size:           8
        .value_kind:     by_value
      - .offset:         104
        .size:           8
        .value_kind:     by_value
      - .offset:         112
        .size:           1
        .value_kind:     by_value
      - .offset:         120
        .size:           4
        .value_kind:     hidden_block_count_x
      - .offset:         124
        .size:           4
        .value_kind:     hidden_block_count_y
      - .offset:         128
        .size:           4
        .value_kind:     hidden_block_count_z
      - .offset:         132
        .size:           2
        .value_kind:     hidden_group_size_x
      - .offset:         134
        .size:           2
        .value_kind:     hidden_group_size_y
      - .offset:         136
        .size:           2
        .value_kind:     hidden_group_size_z
      - .offset:         138
        .size:           2
        .value_kind:     hidden_remainder_x
      - .offset:         140
        .size:           2
        .value_kind:     hidden_remainder_y
      - .offset:         142
        .size:           2
        .value_kind:     hidden_remainder_z
      - .offset:         160
        .size:           8
        .value_kind:     hidden_global_offset_x
      - .offset:         168
        .size:           8
        .value_kind:     hidden_global_offset_y
      - .offset:         176
        .size:           8
        .value_kind:     hidden_global_offset_z
      - .offset:         184
        .size:           2
        .value_kind:     hidden_grid_dims
    .group_segment_fixed_size: 1152
    .kernarg_segment_align: 8
    .kernarg_segment_size: 376
    .language:       OpenCL C
    .language_version:
      - 2
      - 0
    .max_flat_workgroup_size: 64
    .name:           _ZN9rocsparseL11bsrilu0_2_8ILj64ELj64ELj8EdEEv20rocsparse_direction_iPKiS3_PT2_S3_iPiS3_S6_21rocsparse_index_base_imNS_24const_host_device_scalarIfEENS8_IdEENS8_IS4_EEb
    .private_segment_fixed_size: 0
    .sgpr_count:     46
    .sgpr_spill_count: 0
    .symbol:         _ZN9rocsparseL11bsrilu0_2_8ILj64ELj64ELj8EdEEv20rocsparse_direction_iPKiS3_PT2_S3_iPiS3_S6_21rocsparse_index_base_imNS_24const_host_device_scalarIfEENS8_IdEENS8_IS4_EEb.kd
    .uniform_work_group_size: 1
    .uses_dynamic_stack: false
    .vgpr_count:     39
    .vgpr_spill_count: 0
    .wavefront_size: 32
    .workgroup_processor_mode: 1
  - .args:
      - .offset:         0
        .size:           4
        .value_kind:     by_value
      - .offset:         4
        .size:           4
        .value_kind:     by_value
      - .address_space:  global
        .offset:         8
        .size:           8
        .value_kind:     global_buffer
      - .address_space:  global
        .offset:         16
        .size:           8
        .value_kind:     global_buffer
      - .address_space:  global
        .offset:         24
        .size:           8
        .value_kind:     global_buffer
      - .address_space:  global
        .offset:         32
        .size:           8
        .value_kind:     global_buffer
      - .offset:         40
        .size:           4
        .value_kind:     by_value
      - .address_space:  global
        .offset:         48
        .size:           8
        .value_kind:     global_buffer
      - .address_space:  global
        .offset:         56
        .size:           8
        .value_kind:     global_buffer
      - .address_space:  global
        .offset:         64
        .size:           8
        .value_kind:     global_buffer
      - .offset:         72
        .size:           4
        .value_kind:     by_value
      - .offset:         76
        .size:           4
        .value_kind:     by_value
      - .offset:         80
        .size:           8
        .value_kind:     by_value
      - .offset:         88
        .size:           8
        .value_kind:     by_value
      - .offset:         96
        .size:           8
        .value_kind:     by_value
      - .offset:         104
        .size:           8
        .value_kind:     by_value
      - .offset:         112
        .size:           1
        .value_kind:     by_value
    .group_segment_fixed_size: 4352
    .kernarg_segment_align: 8
    .kernarg_segment_size: 116
    .language:       OpenCL C
    .language_version:
      - 2
      - 0
    .max_flat_workgroup_size: 64
    .name:           _ZN9rocsparseL12bsrilu0_9_32ILj64ELj64ELj16EdEEv20rocsparse_direction_iPKiS3_PT2_S3_iPiS3_S6_21rocsparse_index_base_imNS_24const_host_device_scalarIfEENS8_IdEENS8_IS4_EEb
    .private_segment_fixed_size: 0
    .sgpr_count:     50
    .sgpr_spill_count: 0
    .symbol:         _ZN9rocsparseL12bsrilu0_9_32ILj64ELj64ELj16EdEEv20rocsparse_direction_iPKiS3_PT2_S3_iPiS3_S6_21rocsparse_index_base_imNS_24const_host_device_scalarIfEENS8_IdEENS8_IS4_EEb.kd
    .uniform_work_group_size: 1
    .uses_dynamic_stack: false
    .vgpr_count:     38
    .vgpr_spill_count: 0
    .wavefront_size: 32
    .workgroup_processor_mode: 1
  - .args:
      - .offset:         0
        .size:           4
        .value_kind:     by_value
      - .offset:         4
        .size:           4
        .value_kind:     by_value
      - .address_space:  global
        .offset:         8
        .size:           8
        .value_kind:     global_buffer
      - .address_space:  global
        .offset:         16
        .size:           8
        .value_kind:     global_buffer
      - .address_space:  global
        .offset:         24
        .size:           8
        .value_kind:     global_buffer
      - .address_space:  global
        .offset:         32
        .size:           8
        .value_kind:     global_buffer
      - .offset:         40
        .size:           4
        .value_kind:     by_value
      - .address_space:  global
        .offset:         48
        .size:           8
        .value_kind:     global_buffer
      - .address_space:  global
        .offset:         56
        .size:           8
        .value_kind:     global_buffer
      - .address_space:  global
        .offset:         64
        .size:           8
        .value_kind:     global_buffer
      - .offset:         72
        .size:           4
        .value_kind:     by_value
      - .offset:         76
        .size:           4
        .value_kind:     by_value
      - .offset:         80
        .size:           8
        .value_kind:     by_value
      - .offset:         88
        .size:           8
        .value_kind:     by_value
      - .offset:         96
        .size:           8
        .value_kind:     by_value
      - .offset:         104
        .size:           8
        .value_kind:     by_value
      - .offset:         112
        .size:           1
        .value_kind:     by_value
    .group_segment_fixed_size: 16896
    .kernarg_segment_align: 8
    .kernarg_segment_size: 116
    .language:       OpenCL C
    .language_version:
      - 2
      - 0
    .max_flat_workgroup_size: 64
    .name:           _ZN9rocsparseL12bsrilu0_9_32ILj64ELj64ELj32EdEEv20rocsparse_direction_iPKiS3_PT2_S3_iPiS3_S6_21rocsparse_index_base_imNS_24const_host_device_scalarIfEENS8_IdEENS8_IS4_EEb
    .private_segment_fixed_size: 0
    .sgpr_count:     50
    .sgpr_spill_count: 0
    .symbol:         _ZN9rocsparseL12bsrilu0_9_32ILj64ELj64ELj32EdEEv20rocsparse_direction_iPKiS3_PT2_S3_iPiS3_S6_21rocsparse_index_base_imNS_24const_host_device_scalarIfEENS8_IdEENS8_IS4_EEb.kd
    .uniform_work_group_size: 1
    .uses_dynamic_stack: false
    .vgpr_count:     38
    .vgpr_spill_count: 0
    .wavefront_size: 32
    .workgroup_processor_mode: 1
  - .args:
      - .offset:         0
        .size:           4
        .value_kind:     by_value
      - .offset:         4
        .size:           4
        .value_kind:     by_value
      - .address_space:  global
        .offset:         8
        .size:           8
        .value_kind:     global_buffer
      - .address_space:  global
        .offset:         16
        .size:           8
        .value_kind:     global_buffer
      - .address_space:  global
        .offset:         24
        .size:           8
        .value_kind:     global_buffer
      - .address_space:  global
        .offset:         32
        .size:           8
        .value_kind:     global_buffer
      - .offset:         40
        .size:           4
        .value_kind:     by_value
      - .address_space:  global
        .offset:         48
        .size:           8
        .value_kind:     global_buffer
      - .address_space:  global
        .offset:         56
        .size:           8
        .value_kind:     global_buffer
      - .address_space:  global
        .offset:         64
        .size:           8
        .value_kind:     global_buffer
      - .offset:         72
        .size:           4
        .value_kind:     by_value
      - .offset:         76
        .size:           4
        .value_kind:     by_value
      - .offset:         80
        .size:           8
        .value_kind:     by_value
      - .offset:         88
        .size:           8
        .value_kind:     by_value
      - .offset:         96
        .size:           8
        .value_kind:     by_value
      - .offset:         104
        .size:           8
        .value_kind:     by_value
      - .offset:         112
        .size:           1
        .value_kind:     by_value
    .group_segment_fixed_size: 33280
    .kernarg_segment_align: 8
    .kernarg_segment_size: 116
    .language:       OpenCL C
    .language_version:
      - 2
      - 0
    .max_flat_workgroup_size: 64
    .name:           _ZN9rocsparseL13bsrilu0_33_64ILj64ELj64ELj64EdEEv20rocsparse_direction_iPKiS3_PT2_S3_iPiS3_S6_21rocsparse_index_base_imNS_24const_host_device_scalarIfEENS8_IdEENS8_IS4_EEb
    .private_segment_fixed_size: 0
    .sgpr_count:     52
    .sgpr_spill_count: 0
    .symbol:         _ZN9rocsparseL13bsrilu0_33_64ILj64ELj64ELj64EdEEv20rocsparse_direction_iPKiS3_PT2_S3_iPiS3_S6_21rocsparse_index_base_imNS_24const_host_device_scalarIfEENS8_IdEENS8_IS4_EEb.kd
    .uniform_work_group_size: 1
    .uses_dynamic_stack: false
    .vgpr_count:     37
    .vgpr_spill_count: 0
    .wavefront_size: 32
    .workgroup_processor_mode: 1
  - .args:
      - .offset:         0
        .size:           4
        .value_kind:     by_value
      - .offset:         4
        .size:           4
        .value_kind:     by_value
      - .address_space:  global
        .offset:         8
        .size:           8
        .value_kind:     global_buffer
      - .address_space:  global
        .offset:         16
        .size:           8
        .value_kind:     global_buffer
      - .address_space:  global
        .offset:         24
        .size:           8
        .value_kind:     global_buffer
      - .address_space:  global
        .offset:         32
        .size:           8
        .value_kind:     global_buffer
      - .offset:         40
        .size:           4
        .value_kind:     by_value
      - .address_space:  global
        .offset:         48
        .size:           8
        .value_kind:     global_buffer
      - .address_space:  global
        .offset:         56
        .size:           8
        .value_kind:     global_buffer
      - .address_space:  global
        .offset:         64
        .size:           8
        .value_kind:     global_buffer
      - .offset:         72
        .size:           4
        .value_kind:     by_value
      - .offset:         76
        .size:           4
        .value_kind:     by_value
      - .offset:         80
        .size:           8
        .value_kind:     by_value
      - .offset:         88
        .size:           8
        .value_kind:     by_value
      - .offset:         96
        .size:           8
        .value_kind:     by_value
      - .offset:         104
        .size:           8
        .value_kind:     by_value
      - .offset:         112
        .size:           1
        .value_kind:     by_value
    .group_segment_fixed_size: 0
    .kernarg_segment_align: 8
    .kernarg_segment_size: 116
    .language:       OpenCL C
    .language_version:
      - 2
      - 0
    .max_flat_workgroup_size: 128
    .name:           _ZN9rocsparseL15bsrilu0_generalILj128ELj64ELb0EdEEv20rocsparse_direction_iPKiS3_PT2_S3_iPiS3_S6_21rocsparse_index_base_imNS_24const_host_device_scalarIfEENS8_IdEENS8_IS4_EEb
    .private_segment_fixed_size: 0
    .sgpr_count:     46
    .sgpr_spill_count: 0
    .symbol:         _ZN9rocsparseL15bsrilu0_generalILj128ELj64ELb0EdEEv20rocsparse_direction_iPKiS3_PT2_S3_iPiS3_S6_21rocsparse_index_base_imNS_24const_host_device_scalarIfEENS8_IdEENS8_IS4_EEb.kd
    .uniform_work_group_size: 1
    .uses_dynamic_stack: false
    .vgpr_count:     40
    .vgpr_spill_count: 0
    .wavefront_size: 32
    .workgroup_processor_mode: 1
  - .args:
      - .offset:         0
        .size:           4
        .value_kind:     by_value
      - .offset:         4
        .size:           4
        .value_kind:     by_value
      - .address_space:  global
        .offset:         8
        .size:           8
        .value_kind:     global_buffer
      - .address_space:  global
        .offset:         16
        .size:           8
        .value_kind:     global_buffer
      - .address_space:  global
        .offset:         24
        .size:           8
        .value_kind:     global_buffer
      - .address_space:  global
        .offset:         32
        .size:           8
        .value_kind:     global_buffer
      - .offset:         40
        .size:           4
        .value_kind:     by_value
      - .address_space:  global
        .offset:         48
        .size:           8
        .value_kind:     global_buffer
      - .address_space:  global
        .offset:         56
        .size:           8
        .value_kind:     global_buffer
      - .address_space:  global
        .offset:         64
        .size:           8
        .value_kind:     global_buffer
      - .offset:         72
        .size:           4
        .value_kind:     by_value
      - .offset:         76
        .size:           4
        .value_kind:     by_value
      - .offset:         80
        .size:           8
        .value_kind:     by_value
      - .offset:         88
        .size:           8
        .value_kind:     by_value
      - .offset:         96
        .size:           8
        .value_kind:     by_value
      - .offset:         104
        .size:           8
        .value_kind:     by_value
      - .offset:         112
        .size:           1
        .value_kind:     by_value
    .group_segment_fixed_size: 0
    .kernarg_segment_align: 8
    .kernarg_segment_size: 116
    .language:       OpenCL C
    .language_version:
      - 2
      - 0
    .max_flat_workgroup_size: 128
    .name:           _ZN9rocsparseL15bsrilu0_generalILj128ELj64ELb1E21rocsparse_complex_numIfEEEv20rocsparse_direction_iPKiS5_PT2_S5_iPiS5_S8_21rocsparse_index_base_imNS_24const_host_device_scalarIfEENSA_IdEENSA_IS6_EEb
    .private_segment_fixed_size: 0
    .sgpr_count:     47
    .sgpr_spill_count: 0
    .symbol:         _ZN9rocsparseL15bsrilu0_generalILj128ELj64ELb1E21rocsparse_complex_numIfEEEv20rocsparse_direction_iPKiS5_PT2_S5_iPiS5_S8_21rocsparse_index_base_imNS_24const_host_device_scalarIfEENSA_IdEENSA_IS6_EEb.kd
    .uniform_work_group_size: 1
    .uses_dynamic_stack: false
    .vgpr_count:     39
    .vgpr_spill_count: 0
    .wavefront_size: 32
    .workgroup_processor_mode: 1
  - .args:
      - .offset:         0
        .size:           4
        .value_kind:     by_value
      - .offset:         4
        .size:           4
        .value_kind:     by_value
      - .address_space:  global
        .offset:         8
        .size:           8
        .value_kind:     global_buffer
      - .address_space:  global
        .offset:         16
        .size:           8
        .value_kind:     global_buffer
      - .address_space:  global
        .offset:         24
        .size:           8
        .value_kind:     global_buffer
      - .address_space:  global
        .offset:         32
        .size:           8
        .value_kind:     global_buffer
      - .offset:         40
        .size:           4
        .value_kind:     by_value
      - .address_space:  global
        .offset:         48
        .size:           8
        .value_kind:     global_buffer
      - .address_space:  global
        .offset:         56
        .size:           8
        .value_kind:     global_buffer
      - .address_space:  global
        .offset:         64
        .size:           8
        .value_kind:     global_buffer
      - .offset:         72
        .size:           4
        .value_kind:     by_value
      - .offset:         76
        .size:           4
        .value_kind:     by_value
      - .offset:         80
        .size:           8
        .value_kind:     by_value
      - .offset:         88
        .size:           8
        .value_kind:     by_value
      - .offset:         96
        .size:           8
        .value_kind:     by_value
      - .offset:         104
        .size:           8
        .value_kind:     by_value
      - .offset:         112
        .size:           1
        .value_kind:     by_value
    .group_segment_fixed_size: 0
    .kernarg_segment_align: 8
    .kernarg_segment_size: 116
    .language:       OpenCL C
    .language_version:
      - 2
      - 0
    .max_flat_workgroup_size: 128
    .name:           _ZN9rocsparseL15bsrilu0_generalILj128ELj32ELb0E21rocsparse_complex_numIfEEEv20rocsparse_direction_iPKiS5_PT2_S5_iPiS5_S8_21rocsparse_index_base_imNS_24const_host_device_scalarIfEENSA_IdEENSA_IS6_EEb
    .private_segment_fixed_size: 0
    .sgpr_count:     47
    .sgpr_spill_count: 0
    .symbol:         _ZN9rocsparseL15bsrilu0_generalILj128ELj32ELb0E21rocsparse_complex_numIfEEEv20rocsparse_direction_iPKiS5_PT2_S5_iPiS5_S8_21rocsparse_index_base_imNS_24const_host_device_scalarIfEENSA_IdEENSA_IS6_EEb.kd
    .uniform_work_group_size: 1
    .uses_dynamic_stack: false
    .vgpr_count:     39
    .vgpr_spill_count: 0
    .wavefront_size: 32
    .workgroup_processor_mode: 1
  - .args:
      - .offset:         0
        .size:           4
        .value_kind:     by_value
      - .offset:         4
        .size:           4
        .value_kind:     by_value
      - .address_space:  global
        .offset:         8
        .size:           8
        .value_kind:     global_buffer
      - .address_space:  global
        .offset:         16
        .size:           8
        .value_kind:     global_buffer
      - .address_space:  global
        .offset:         24
        .size:           8
        .value_kind:     global_buffer
      - .address_space:  global
        .offset:         32
        .size:           8
        .value_kind:     global_buffer
      - .offset:         40
        .size:           4
        .value_kind:     by_value
      - .address_space:  global
        .offset:         48
        .size:           8
        .value_kind:     global_buffer
      - .address_space:  global
        .offset:         56
        .size:           8
        .value_kind:     global_buffer
      - .address_space:  global
        .offset:         64
        .size:           8
        .value_kind:     global_buffer
      - .offset:         72
        .size:           4
        .value_kind:     by_value
      - .offset:         76
        .size:           4
        .value_kind:     by_value
      - .offset:         80
        .size:           8
        .value_kind:     by_value
      - .offset:         88
        .size:           8
        .value_kind:     by_value
      - .offset:         96
        .size:           8
        .value_kind:     by_value
      - .offset:         104
        .size:           8
        .value_kind:     by_value
      - .offset:         112
        .size:           1
        .value_kind:     by_value
      - .offset:         120
        .size:           4
        .value_kind:     hidden_block_count_x
      - .offset:         124
        .size:           4
        .value_kind:     hidden_block_count_y
      - .offset:         128
        .size:           4
        .value_kind:     hidden_block_count_z
      - .offset:         132
        .size:           2
        .value_kind:     hidden_group_size_x
      - .offset:         134
        .size:           2
        .value_kind:     hidden_group_size_y
      - .offset:         136
        .size:           2
        .value_kind:     hidden_group_size_z
      - .offset:         138
        .size:           2
        .value_kind:     hidden_remainder_x
      - .offset:         140
        .size:           2
        .value_kind:     hidden_remainder_y
      - .offset:         142
        .size:           2
        .value_kind:     hidden_remainder_z
      - .offset:         160
        .size:           8
        .value_kind:     hidden_global_offset_x
      - .offset:         168
        .size:           8
        .value_kind:     hidden_global_offset_y
      - .offset:         176
        .size:           8
        .value_kind:     hidden_global_offset_z
      - .offset:         184
        .size:           2
        .value_kind:     hidden_grid_dims
    .group_segment_fixed_size: 1152
    .kernarg_segment_align: 8
    .kernarg_segment_size: 376
    .language:       OpenCL C
    .language_version:
      - 2
      - 0
    .max_flat_workgroup_size: 64
    .name:           _ZN9rocsparseL11bsrilu0_2_8ILj64ELj64ELj8E21rocsparse_complex_numIfEEEv20rocsparse_direction_iPKiS5_PT2_S5_iPiS5_S8_21rocsparse_index_base_imNS_24const_host_device_scalarIfEENSA_IdEENSA_IS6_EEb
    .private_segment_fixed_size: 0
    .sgpr_count:     48
    .sgpr_spill_count: 0
    .symbol:         _ZN9rocsparseL11bsrilu0_2_8ILj64ELj64ELj8E21rocsparse_complex_numIfEEEv20rocsparse_direction_iPKiS5_PT2_S5_iPiS5_S8_21rocsparse_index_base_imNS_24const_host_device_scalarIfEENSA_IdEENSA_IS6_EEb.kd
    .uniform_work_group_size: 1
    .uses_dynamic_stack: false
    .vgpr_count:     36
    .vgpr_spill_count: 0
    .wavefront_size: 32
    .workgroup_processor_mode: 1
  - .args:
      - .offset:         0
        .size:           4
        .value_kind:     by_value
      - .offset:         4
        .size:           4
        .value_kind:     by_value
      - .address_space:  global
        .offset:         8
        .size:           8
        .value_kind:     global_buffer
      - .address_space:  global
        .offset:         16
        .size:           8
        .value_kind:     global_buffer
      - .address_space:  global
        .offset:         24
        .size:           8
        .value_kind:     global_buffer
      - .address_space:  global
        .offset:         32
        .size:           8
        .value_kind:     global_buffer
      - .offset:         40
        .size:           4
        .value_kind:     by_value
      - .address_space:  global
        .offset:         48
        .size:           8
        .value_kind:     global_buffer
      - .address_space:  global
        .offset:         56
        .size:           8
        .value_kind:     global_buffer
      - .address_space:  global
        .offset:         64
        .size:           8
        .value_kind:     global_buffer
      - .offset:         72
        .size:           4
        .value_kind:     by_value
      - .offset:         76
        .size:           4
        .value_kind:     by_value
      - .offset:         80
        .size:           8
        .value_kind:     by_value
      - .offset:         88
        .size:           8
        .value_kind:     by_value
      - .offset:         96
        .size:           8
        .value_kind:     by_value
      - .offset:         104
        .size:           8
        .value_kind:     by_value
      - .offset:         112
        .size:           1
        .value_kind:     by_value
    .group_segment_fixed_size: 4352
    .kernarg_segment_align: 8
    .kernarg_segment_size: 116
    .language:       OpenCL C
    .language_version:
      - 2
      - 0
    .max_flat_workgroup_size: 64
    .name:           _ZN9rocsparseL12bsrilu0_9_32ILj64ELj64ELj16E21rocsparse_complex_numIfEEEv20rocsparse_direction_iPKiS5_PT2_S5_iPiS5_S8_21rocsparse_index_base_imNS_24const_host_device_scalarIfEENSA_IdEENSA_IS6_EEb
    .private_segment_fixed_size: 0
    .sgpr_count:     51
    .sgpr_spill_count: 0
    .symbol:         _ZN9rocsparseL12bsrilu0_9_32ILj64ELj64ELj16E21rocsparse_complex_numIfEEEv20rocsparse_direction_iPKiS5_PT2_S5_iPiS5_S8_21rocsparse_index_base_imNS_24const_host_device_scalarIfEENSA_IdEENSA_IS6_EEb.kd
    .uniform_work_group_size: 1
    .uses_dynamic_stack: false
    .vgpr_count:     36
    .vgpr_spill_count: 0
    .wavefront_size: 32
    .workgroup_processor_mode: 1
  - .args:
      - .offset:         0
        .size:           4
        .value_kind:     by_value
      - .offset:         4
        .size:           4
        .value_kind:     by_value
      - .address_space:  global
        .offset:         8
        .size:           8
        .value_kind:     global_buffer
      - .address_space:  global
        .offset:         16
        .size:           8
        .value_kind:     global_buffer
      - .address_space:  global
        .offset:         24
        .size:           8
        .value_kind:     global_buffer
      - .address_space:  global
        .offset:         32
        .size:           8
        .value_kind:     global_buffer
      - .offset:         40
        .size:           4
        .value_kind:     by_value
      - .address_space:  global
        .offset:         48
        .size:           8
        .value_kind:     global_buffer
      - .address_space:  global
        .offset:         56
        .size:           8
        .value_kind:     global_buffer
      - .address_space:  global
        .offset:         64
        .size:           8
        .value_kind:     global_buffer
      - .offset:         72
        .size:           4
        .value_kind:     by_value
      - .offset:         76
        .size:           4
        .value_kind:     by_value
      - .offset:         80
        .size:           8
        .value_kind:     by_value
      - .offset:         88
        .size:           8
        .value_kind:     by_value
      - .offset:         96
        .size:           8
        .value_kind:     by_value
      - .offset:         104
        .size:           8
        .value_kind:     by_value
      - .offset:         112
        .size:           1
        .value_kind:     by_value
    .group_segment_fixed_size: 16896
    .kernarg_segment_align: 8
    .kernarg_segment_size: 116
    .language:       OpenCL C
    .language_version:
      - 2
      - 0
    .max_flat_workgroup_size: 64
    .name:           _ZN9rocsparseL12bsrilu0_9_32ILj64ELj64ELj32E21rocsparse_complex_numIfEEEv20rocsparse_direction_iPKiS5_PT2_S5_iPiS5_S8_21rocsparse_index_base_imNS_24const_host_device_scalarIfEENSA_IdEENSA_IS6_EEb
    .private_segment_fixed_size: 0
    .sgpr_count:     51
    .sgpr_spill_count: 0
    .symbol:         _ZN9rocsparseL12bsrilu0_9_32ILj64ELj64ELj32E21rocsparse_complex_numIfEEEv20rocsparse_direction_iPKiS5_PT2_S5_iPiS5_S8_21rocsparse_index_base_imNS_24const_host_device_scalarIfEENSA_IdEENSA_IS6_EEb.kd
    .uniform_work_group_size: 1
    .uses_dynamic_stack: false
    .vgpr_count:     36
    .vgpr_spill_count: 0
    .wavefront_size: 32
    .workgroup_processor_mode: 1
  - .args:
      - .offset:         0
        .size:           4
        .value_kind:     by_value
      - .offset:         4
        .size:           4
        .value_kind:     by_value
      - .address_space:  global
        .offset:         8
        .size:           8
        .value_kind:     global_buffer
      - .address_space:  global
        .offset:         16
        .size:           8
        .value_kind:     global_buffer
      - .address_space:  global
        .offset:         24
        .size:           8
        .value_kind:     global_buffer
      - .address_space:  global
        .offset:         32
        .size:           8
        .value_kind:     global_buffer
      - .offset:         40
        .size:           4
        .value_kind:     by_value
      - .address_space:  global
        .offset:         48
        .size:           8
        .value_kind:     global_buffer
      - .address_space:  global
        .offset:         56
        .size:           8
        .value_kind:     global_buffer
      - .address_space:  global
        .offset:         64
        .size:           8
        .value_kind:     global_buffer
      - .offset:         72
        .size:           4
        .value_kind:     by_value
      - .offset:         76
        .size:           4
        .value_kind:     by_value
      - .offset:         80
        .size:           8
        .value_kind:     by_value
      - .offset:         88
        .size:           8
        .value_kind:     by_value
      - .offset:         96
        .size:           8
        .value_kind:     by_value
      - .offset:         104
        .size:           8
        .value_kind:     by_value
      - .offset:         112
        .size:           1
        .value_kind:     by_value
    .group_segment_fixed_size: 33280
    .kernarg_segment_align: 8
    .kernarg_segment_size: 116
    .language:       OpenCL C
    .language_version:
      - 2
      - 0
    .max_flat_workgroup_size: 64
    .name:           _ZN9rocsparseL13bsrilu0_33_64ILj64ELj64ELj64E21rocsparse_complex_numIfEEEv20rocsparse_direction_iPKiS5_PT2_S5_iPiS5_S8_21rocsparse_index_base_imNS_24const_host_device_scalarIfEENSA_IdEENSA_IS6_EEb
    .private_segment_fixed_size: 0
    .sgpr_count:     53
    .sgpr_spill_count: 0
    .symbol:         _ZN9rocsparseL13bsrilu0_33_64ILj64ELj64ELj64E21rocsparse_complex_numIfEEEv20rocsparse_direction_iPKiS5_PT2_S5_iPiS5_S8_21rocsparse_index_base_imNS_24const_host_device_scalarIfEENSA_IdEENSA_IS6_EEb.kd
    .uniform_work_group_size: 1
    .uses_dynamic_stack: false
    .vgpr_count:     37
    .vgpr_spill_count: 0
    .wavefront_size: 32
    .workgroup_processor_mode: 1
  - .args:
      - .offset:         0
        .size:           4
        .value_kind:     by_value
      - .offset:         4
        .size:           4
        .value_kind:     by_value
      - .address_space:  global
        .offset:         8
        .size:           8
        .value_kind:     global_buffer
      - .address_space:  global
        .offset:         16
        .size:           8
        .value_kind:     global_buffer
      - .address_space:  global
        .offset:         24
        .size:           8
        .value_kind:     global_buffer
      - .address_space:  global
        .offset:         32
        .size:           8
        .value_kind:     global_buffer
      - .offset:         40
        .size:           4
        .value_kind:     by_value
      - .address_space:  global
        .offset:         48
        .size:           8
        .value_kind:     global_buffer
      - .address_space:  global
        .offset:         56
        .size:           8
        .value_kind:     global_buffer
      - .address_space:  global
        .offset:         64
        .size:           8
        .value_kind:     global_buffer
      - .offset:         72
        .size:           4
        .value_kind:     by_value
      - .offset:         76
        .size:           4
        .value_kind:     by_value
      - .offset:         80
        .size:           8
        .value_kind:     by_value
      - .offset:         88
        .size:           8
        .value_kind:     by_value
      - .offset:         96
        .size:           8
        .value_kind:     by_value
      - .offset:         104
        .size:           8
        .value_kind:     by_value
      - .offset:         112
        .size:           1
        .value_kind:     by_value
    .group_segment_fixed_size: 0
    .kernarg_segment_align: 8
    .kernarg_segment_size: 116
    .language:       OpenCL C
    .language_version:
      - 2
      - 0
    .max_flat_workgroup_size: 128
    .name:           _ZN9rocsparseL15bsrilu0_generalILj128ELj64ELb0E21rocsparse_complex_numIfEEEv20rocsparse_direction_iPKiS5_PT2_S5_iPiS5_S8_21rocsparse_index_base_imNS_24const_host_device_scalarIfEENSA_IdEENSA_IS6_EEb
    .private_segment_fixed_size: 0
    .sgpr_count:     47
    .sgpr_spill_count: 0
    .symbol:         _ZN9rocsparseL15bsrilu0_generalILj128ELj64ELb0E21rocsparse_complex_numIfEEEv20rocsparse_direction_iPKiS5_PT2_S5_iPiS5_S8_21rocsparse_index_base_imNS_24const_host_device_scalarIfEENSA_IdEENSA_IS6_EEb.kd
    .uniform_work_group_size: 1
    .uses_dynamic_stack: false
    .vgpr_count:     39
    .vgpr_spill_count: 0
    .wavefront_size: 32
    .workgroup_processor_mode: 1
  - .args:
      - .offset:         0
        .size:           4
        .value_kind:     by_value
      - .offset:         4
        .size:           4
        .value_kind:     by_value
      - .address_space:  global
        .offset:         8
        .size:           8
        .value_kind:     global_buffer
      - .address_space:  global
        .offset:         16
        .size:           8
        .value_kind:     global_buffer
      - .address_space:  global
        .offset:         24
        .size:           8
        .value_kind:     global_buffer
      - .address_space:  global
        .offset:         32
        .size:           8
        .value_kind:     global_buffer
      - .offset:         40
        .size:           4
        .value_kind:     by_value
      - .address_space:  global
        .offset:         48
        .size:           8
        .value_kind:     global_buffer
      - .address_space:  global
        .offset:         56
        .size:           8
        .value_kind:     global_buffer
      - .address_space:  global
        .offset:         64
        .size:           8
        .value_kind:     global_buffer
      - .offset:         72
        .size:           4
        .value_kind:     by_value
      - .offset:         76
        .size:           4
        .value_kind:     by_value
      - .offset:         80
        .size:           8
        .value_kind:     by_value
      - .offset:         88
        .size:           8
        .value_kind:     by_value
      - .offset:         96
        .size:           8
        .value_kind:     by_value
      - .offset:         104
        .size:           16
        .value_kind:     by_value
      - .offset:         120
        .size:           1
        .value_kind:     by_value
    .group_segment_fixed_size: 1024
    .kernarg_segment_align: 8
    .kernarg_segment_size: 124
    .language:       OpenCL C
    .language_version:
      - 2
      - 0
    .max_flat_workgroup_size: 128
    .name:           _ZN9rocsparseL15bsrilu0_generalILj128ELj64ELb1E21rocsparse_complex_numIdEEEv20rocsparse_direction_iPKiS5_PT2_S5_iPiS5_S8_21rocsparse_index_base_imNS_24const_host_device_scalarIfEENSA_IdEENSA_IS6_EEb
    .private_segment_fixed_size: 40
    .sgpr_count:     45
    .sgpr_spill_count: 0
    .symbol:         _ZN9rocsparseL15bsrilu0_generalILj128ELj64ELb1E21rocsparse_complex_numIdEEEv20rocsparse_direction_iPKiS5_PT2_S5_iPiS5_S8_21rocsparse_index_base_imNS_24const_host_device_scalarIfEENSA_IdEENSA_IS6_EEb.kd
    .uniform_work_group_size: 1
    .uses_dynamic_stack: false
    .vgpr_count:     48
    .vgpr_spill_count: 0
    .wavefront_size: 32
    .workgroup_processor_mode: 1
  - .args:
      - .offset:         0
        .size:           4
        .value_kind:     by_value
      - .offset:         4
        .size:           4
        .value_kind:     by_value
      - .address_space:  global
        .offset:         8
        .size:           8
        .value_kind:     global_buffer
      - .address_space:  global
        .offset:         16
        .size:           8
        .value_kind:     global_buffer
      - .address_space:  global
        .offset:         24
        .size:           8
        .value_kind:     global_buffer
      - .address_space:  global
        .offset:         32
        .size:           8
        .value_kind:     global_buffer
      - .offset:         40
        .size:           4
        .value_kind:     by_value
      - .address_space:  global
        .offset:         48
        .size:           8
        .value_kind:     global_buffer
      - .address_space:  global
        .offset:         56
        .size:           8
        .value_kind:     global_buffer
      - .address_space:  global
        .offset:         64
        .size:           8
        .value_kind:     global_buffer
      - .offset:         72
        .size:           4
        .value_kind:     by_value
      - .offset:         76
        .size:           4
        .value_kind:     by_value
      - .offset:         80
        .size:           8
        .value_kind:     by_value
      - .offset:         88
        .size:           8
        .value_kind:     by_value
      - .offset:         96
        .size:           8
        .value_kind:     by_value
      - .offset:         104
        .size:           16
        .value_kind:     by_value
      - .offset:         120
        .size:           1
        .value_kind:     by_value
    .group_segment_fixed_size: 1024
    .kernarg_segment_align: 8
    .kernarg_segment_size: 124
    .language:       OpenCL C
    .language_version:
      - 2
      - 0
    .max_flat_workgroup_size: 128
    .name:           _ZN9rocsparseL15bsrilu0_generalILj128ELj32ELb0E21rocsparse_complex_numIdEEEv20rocsparse_direction_iPKiS5_PT2_S5_iPiS5_S8_21rocsparse_index_base_imNS_24const_host_device_scalarIfEENSA_IdEENSA_IS6_EEb
    .private_segment_fixed_size: 40
    .sgpr_count:     45
    .sgpr_spill_count: 0
    .symbol:         _ZN9rocsparseL15bsrilu0_generalILj128ELj32ELb0E21rocsparse_complex_numIdEEEv20rocsparse_direction_iPKiS5_PT2_S5_iPiS5_S8_21rocsparse_index_base_imNS_24const_host_device_scalarIfEENSA_IdEENSA_IS6_EEb.kd
    .uniform_work_group_size: 1
    .uses_dynamic_stack: false
    .vgpr_count:     48
    .vgpr_spill_count: 0
    .wavefront_size: 32
    .workgroup_processor_mode: 1
  - .args:
      - .offset:         0
        .size:           4
        .value_kind:     by_value
      - .offset:         4
        .size:           4
        .value_kind:     by_value
      - .address_space:  global
        .offset:         8
        .size:           8
        .value_kind:     global_buffer
      - .address_space:  global
        .offset:         16
        .size:           8
        .value_kind:     global_buffer
      - .address_space:  global
        .offset:         24
        .size:           8
        .value_kind:     global_buffer
      - .address_space:  global
        .offset:         32
        .size:           8
        .value_kind:     global_buffer
      - .offset:         40
        .size:           4
        .value_kind:     by_value
      - .address_space:  global
        .offset:         48
        .size:           8
        .value_kind:     global_buffer
      - .address_space:  global
        .offset:         56
        .size:           8
        .value_kind:     global_buffer
      - .address_space:  global
        .offset:         64
        .size:           8
        .value_kind:     global_buffer
      - .offset:         72
        .size:           4
        .value_kind:     by_value
      - .offset:         76
        .size:           4
        .value_kind:     by_value
      - .offset:         80
        .size:           8
        .value_kind:     by_value
      - .offset:         88
        .size:           8
        .value_kind:     by_value
      - .offset:         96
        .size:           8
        .value_kind:     by_value
      - .offset:         104
        .size:           16
        .value_kind:     by_value
      - .offset:         120
        .size:           1
        .value_kind:     by_value
      - .offset:         128
        .size:           4
        .value_kind:     hidden_block_count_x
      - .offset:         132
        .size:           4
        .value_kind:     hidden_block_count_y
      - .offset:         136
        .size:           4
        .value_kind:     hidden_block_count_z
      - .offset:         140
        .size:           2
        .value_kind:     hidden_group_size_x
      - .offset:         142
        .size:           2
        .value_kind:     hidden_group_size_y
      - .offset:         144
        .size:           2
        .value_kind:     hidden_group_size_z
      - .offset:         146
        .size:           2
        .value_kind:     hidden_remainder_x
      - .offset:         148
        .size:           2
        .value_kind:     hidden_remainder_y
      - .offset:         150
        .size:           2
        .value_kind:     hidden_remainder_z
      - .offset:         168
        .size:           8
        .value_kind:     hidden_global_offset_x
      - .offset:         176
        .size:           8
        .value_kind:     hidden_global_offset_y
      - .offset:         184
        .size:           8
        .value_kind:     hidden_global_offset_z
      - .offset:         192
        .size:           2
        .value_kind:     hidden_grid_dims
    .group_segment_fixed_size: 2816
    .kernarg_segment_align: 8
    .kernarg_segment_size: 384
    .language:       OpenCL C
    .language_version:
      - 2
      - 0
    .max_flat_workgroup_size: 64
    .name:           _ZN9rocsparseL11bsrilu0_2_8ILj64ELj64ELj8E21rocsparse_complex_numIdEEEv20rocsparse_direction_iPKiS5_PT2_S5_iPiS5_S8_21rocsparse_index_base_imNS_24const_host_device_scalarIfEENSA_IdEENSA_IS6_EEb
    .private_segment_fixed_size: 40
    .sgpr_count:     42
    .sgpr_spill_count: 0
    .symbol:         _ZN9rocsparseL11bsrilu0_2_8ILj64ELj64ELj8E21rocsparse_complex_numIdEEEv20rocsparse_direction_iPKiS5_PT2_S5_iPiS5_S8_21rocsparse_index_base_imNS_24const_host_device_scalarIfEENSA_IdEENSA_IS6_EEb.kd
    .uniform_work_group_size: 1
    .uses_dynamic_stack: false
    .vgpr_count:     39
    .vgpr_spill_count: 0
    .wavefront_size: 32
    .workgroup_processor_mode: 1
  - .args:
      - .offset:         0
        .size:           4
        .value_kind:     by_value
      - .offset:         4
        .size:           4
        .value_kind:     by_value
      - .address_space:  global
        .offset:         8
        .size:           8
        .value_kind:     global_buffer
      - .address_space:  global
        .offset:         16
        .size:           8
        .value_kind:     global_buffer
      - .address_space:  global
        .offset:         24
        .size:           8
        .value_kind:     global_buffer
      - .address_space:  global
        .offset:         32
        .size:           8
        .value_kind:     global_buffer
      - .offset:         40
        .size:           4
        .value_kind:     by_value
      - .address_space:  global
        .offset:         48
        .size:           8
        .value_kind:     global_buffer
      - .address_space:  global
        .offset:         56
        .size:           8
        .value_kind:     global_buffer
      - .address_space:  global
        .offset:         64
        .size:           8
        .value_kind:     global_buffer
      - .offset:         72
        .size:           4
        .value_kind:     by_value
      - .offset:         76
        .size:           4
        .value_kind:     by_value
      - .offset:         80
        .size:           8
        .value_kind:     by_value
      - .offset:         88
        .size:           8
        .value_kind:     by_value
      - .offset:         96
        .size:           8
        .value_kind:     by_value
      - .offset:         104
        .size:           16
        .value_kind:     by_value
      - .offset:         120
        .size:           1
        .value_kind:     by_value
    .group_segment_fixed_size: 8704
    .kernarg_segment_align: 8
    .kernarg_segment_size: 124
    .language:       OpenCL C
    .language_version:
      - 2
      - 0
    .max_flat_workgroup_size: 64
    .name:           _ZN9rocsparseL12bsrilu0_9_32ILj64ELj64ELj16E21rocsparse_complex_numIdEEEv20rocsparse_direction_iPKiS5_PT2_S5_iPiS5_S8_21rocsparse_index_base_imNS_24const_host_device_scalarIfEENSA_IdEENSA_IS6_EEb
    .private_segment_fixed_size: 48
    .sgpr_count:     49
    .sgpr_spill_count: 0
    .symbol:         _ZN9rocsparseL12bsrilu0_9_32ILj64ELj64ELj16E21rocsparse_complex_numIdEEEv20rocsparse_direction_iPKiS5_PT2_S5_iPiS5_S8_21rocsparse_index_base_imNS_24const_host_device_scalarIfEENSA_IdEENSA_IS6_EEb.kd
    .uniform_work_group_size: 1
    .uses_dynamic_stack: false
    .vgpr_count:     45
    .vgpr_spill_count: 0
    .wavefront_size: 32
    .workgroup_processor_mode: 1
  - .args:
      - .offset:         0
        .size:           4
        .value_kind:     by_value
      - .offset:         4
        .size:           4
        .value_kind:     by_value
      - .address_space:  global
        .offset:         8
        .size:           8
        .value_kind:     global_buffer
      - .address_space:  global
        .offset:         16
        .size:           8
        .value_kind:     global_buffer
      - .address_space:  global
        .offset:         24
        .size:           8
        .value_kind:     global_buffer
      - .address_space:  global
        .offset:         32
        .size:           8
        .value_kind:     global_buffer
      - .offset:         40
        .size:           4
        .value_kind:     by_value
      - .address_space:  global
        .offset:         48
        .size:           8
        .value_kind:     global_buffer
      - .address_space:  global
        .offset:         56
        .size:           8
        .value_kind:     global_buffer
      - .address_space:  global
        .offset:         64
        .size:           8
        .value_kind:     global_buffer
      - .offset:         72
        .size:           4
        .value_kind:     by_value
      - .offset:         76
        .size:           4
        .value_kind:     by_value
      - .offset:         80
        .size:           8
        .value_kind:     by_value
      - .offset:         88
        .size:           8
        .value_kind:     by_value
      - .offset:         96
        .size:           8
        .value_kind:     by_value
      - .offset:         104
        .size:           16
        .value_kind:     by_value
      - .offset:         120
        .size:           1
        .value_kind:     by_value
    .group_segment_fixed_size: 33792
    .kernarg_segment_align: 8
    .kernarg_segment_size: 124
    .language:       OpenCL C
    .language_version:
      - 2
      - 0
    .max_flat_workgroup_size: 64
    .name:           _ZN9rocsparseL12bsrilu0_9_32ILj64ELj64ELj32E21rocsparse_complex_numIdEEEv20rocsparse_direction_iPKiS5_PT2_S5_iPiS5_S8_21rocsparse_index_base_imNS_24const_host_device_scalarIfEENSA_IdEENSA_IS6_EEb
    .private_segment_fixed_size: 48
    .sgpr_count:     49
    .sgpr_spill_count: 0
    .symbol:         _ZN9rocsparseL12bsrilu0_9_32ILj64ELj64ELj32E21rocsparse_complex_numIdEEEv20rocsparse_direction_iPKiS5_PT2_S5_iPiS5_S8_21rocsparse_index_base_imNS_24const_host_device_scalarIfEENSA_IdEENSA_IS6_EEb.kd
    .uniform_work_group_size: 1
    .uses_dynamic_stack: false
    .vgpr_count:     45
    .vgpr_spill_count: 0
    .wavefront_size: 32
    .workgroup_processor_mode: 1
  - .args:
      - .offset:         0
        .size:           4
        .value_kind:     by_value
      - .offset:         4
        .size:           4
        .value_kind:     by_value
      - .address_space:  global
        .offset:         8
        .size:           8
        .value_kind:     global_buffer
      - .address_space:  global
        .offset:         16
        .size:           8
        .value_kind:     global_buffer
      - .address_space:  global
        .offset:         24
        .size:           8
        .value_kind:     global_buffer
      - .address_space:  global
        .offset:         32
        .size:           8
        .value_kind:     global_buffer
      - .offset:         40
        .size:           4
        .value_kind:     by_value
      - .address_space:  global
        .offset:         48
        .size:           8
        .value_kind:     global_buffer
      - .address_space:  global
        .offset:         56
        .size:           8
        .value_kind:     global_buffer
      - .address_space:  global
        .offset:         64
        .size:           8
        .value_kind:     global_buffer
      - .offset:         72
        .size:           4
        .value_kind:     by_value
      - .offset:         76
        .size:           4
        .value_kind:     by_value
      - .offset:         80
        .size:           8
        .value_kind:     by_value
      - .offset:         88
        .size:           8
        .value_kind:     by_value
      - .offset:         96
        .size:           8
        .value_kind:     by_value
      - .offset:         104
        .size:           16
        .value_kind:     by_value
      - .offset:         120
        .size:           1
        .value_kind:     by_value
    .group_segment_fixed_size: 1024
    .kernarg_segment_align: 8
    .kernarg_segment_size: 124
    .language:       OpenCL C
    .language_version:
      - 2
      - 0
    .max_flat_workgroup_size: 128
    .name:           _ZN9rocsparseL15bsrilu0_generalILj128ELj64ELb0E21rocsparse_complex_numIdEEEv20rocsparse_direction_iPKiS5_PT2_S5_iPiS5_S8_21rocsparse_index_base_imNS_24const_host_device_scalarIfEENSA_IdEENSA_IS6_EEb
    .private_segment_fixed_size: 40
    .sgpr_count:     45
    .sgpr_spill_count: 0
    .symbol:         _ZN9rocsparseL15bsrilu0_generalILj128ELj64ELb0E21rocsparse_complex_numIdEEEv20rocsparse_direction_iPKiS5_PT2_S5_iPiS5_S8_21rocsparse_index_base_imNS_24const_host_device_scalarIfEENSA_IdEENSA_IS6_EEb.kd
    .uniform_work_group_size: 1
    .uses_dynamic_stack: false
    .vgpr_count:     48
    .vgpr_spill_count: 0
    .wavefront_size: 32
    .workgroup_processor_mode: 1
amdhsa.target:   amdgcn-amd-amdhsa--gfx1100
amdhsa.version:
  - 1
  - 2
...

	.end_amdgpu_metadata
